;; amdgpu-corpus repo=ROCm/rocFFT kind=compiled arch=gfx1201 opt=O3
	.text
	.amdgcn_target "amdgcn-amd-amdhsa--gfx1201"
	.amdhsa_code_object_version 6
	.protected	fft_rtc_fwd_len289_factors_17_17_wgs_119_tpt_17_half_op_CI_CI_sbcc_twdbase6_3step_dirReg_intrinsicRead ; -- Begin function fft_rtc_fwd_len289_factors_17_17_wgs_119_tpt_17_half_op_CI_CI_sbcc_twdbase6_3step_dirReg_intrinsicRead
	.globl	fft_rtc_fwd_len289_factors_17_17_wgs_119_tpt_17_half_op_CI_CI_sbcc_twdbase6_3step_dirReg_intrinsicRead
	.p2align	8
	.type	fft_rtc_fwd_len289_factors_17_17_wgs_119_tpt_17_half_op_CI_CI_sbcc_twdbase6_3step_dirReg_intrinsicRead,@function
fft_rtc_fwd_len289_factors_17_17_wgs_119_tpt_17_half_op_CI_CI_sbcc_twdbase6_3step_dirReg_intrinsicRead: ; @fft_rtc_fwd_len289_factors_17_17_wgs_119_tpt_17_half_op_CI_CI_sbcc_twdbase6_3step_dirReg_intrinsicRead
; %bb.0:
	s_clause 0x3
	s_load_b64 s[20:21], s[0:1], 0x0
	s_load_b256 s[4:11], s[0:1], 0x8
	s_load_b64 s[22:23], s[0:1], 0x60
	s_load_b64 s[24:25], s[0:1], 0x28
	s_mov_b32 s3, exec_lo
	v_cmpx_gt_u32_e32 0xc0, v0
	s_cbranch_execz .LBB0_3
; %bb.1:
	v_lshlrev_b32_e32 v5, 2, v0
	v_add_co_u32 v1, s2, 0xffffff89, v0
	s_delay_alu instid0(VALU_DEP_1) | instskip(SKIP_1) | instid1(VALU_DEP_3)
	v_add_co_ci_u32_e64 v2, null, 0, -1, s2
	s_wait_kmcnt 0x0
	v_add_co_u32 v3, s2, s4, v5
	s_wait_alu 0xf1ff
	v_add_co_ci_u32_e64 v4, null, s5, 0, s2
	v_add3_u32 v5, v5, 0, 0x1f9c
	s_mov_b32 s4, 0
.LBB0_2:                                ; =>This Inner Loop Header: Depth=1
	global_load_b32 v6, v[3:4], off
	v_add_co_u32 v1, vcc_lo, 0x77, v1
	s_wait_alu 0xfffd
	v_add_co_ci_u32_e32 v2, vcc_lo, 0, v2, vcc_lo
	v_add_co_u32 v3, vcc_lo, 0x1dc, v3
	s_wait_alu 0xfffd
	v_add_co_ci_u32_e32 v4, vcc_lo, 0, v4, vcc_lo
	s_delay_alu instid0(VALU_DEP_3) | instskip(SKIP_1) | instid1(VALU_DEP_1)
	v_cmp_lt_u64_e64 s2, 0x48, v[1:2]
	s_wait_alu 0xfffe
	s_or_b32 s4, s2, s4
	s_wait_loadcnt 0x0
	ds_store_b32 v5, v6
	v_add_nc_u32_e32 v5, 0x1dc, v5
	s_wait_alu 0xfffe
	s_and_not1_b32 exec_lo, exec_lo, s4
	s_cbranch_execnz .LBB0_2
.LBB0_3:
	s_or_b32 exec_lo, exec_lo, s3
	s_mov_b32 s29, 0
	s_wait_kmcnt 0x0
	s_load_b64 s[4:5], s[0:1], 0x68
	s_mov_b32 s0, 0x92481000
	s_movk_i32 s1, 0x64
	s_mov_b32 s28, s29
	s_load_b64 s[26:27], s[8:9], 0x8
	s_add_nc_u64 s[0:1], s[28:29], s[0:1]
	s_mov_b64 s[18:19], 0
	s_add_co_i32 s1, s1, 0x249248c0
	s_delay_alu instid0(SALU_CYCLE_1)
	s_mul_u64 s[2:3], s[0:1], -7
	s_wait_alu 0xfffe
	s_mul_hi_u32 s13, s0, s3
	s_mul_i32 s12, s0, s3
	s_mul_hi_u32 s28, s0, s2
	s_mul_hi_u32 s14, s1, s2
	s_mul_i32 s2, s1, s2
	s_add_nc_u64 s[12:13], s[28:29], s[12:13]
	s_mul_hi_u32 s15, s1, s3
	s_wait_alu 0xfffe
	s_add_co_u32 s2, s12, s2
	s_add_co_ci_u32 s28, s13, s14
	s_add_co_ci_u32 s13, s15, 0
	s_mul_i32 s12, s1, s3
	s_delay_alu instid0(SALU_CYCLE_1) | instskip(SKIP_4) | instid1(VALU_DEP_1)
	s_add_nc_u64 s[2:3], s[28:29], s[12:13]
	s_wait_kmcnt 0x0
	s_add_nc_u64 s[12:13], s[26:27], -1
	s_wait_alu 0xfffe
	v_add_co_u32 v1, s0, s0, s2
	s_cmp_lg_u32 s0, 0
	s_add_co_ci_u32 s2, s1, s3
	s_delay_alu instid0(VALU_DEP_1)
	v_readfirstlane_b32 s3, v1
	s_wait_alu 0xfffe
	s_mul_hi_u32 s1, s12, s2
	s_mul_i32 s0, s12, s2
	s_mul_hi_u32 s14, s13, s2
	s_mul_i32 s2, s13, s2
	s_mul_hi_u32 s28, s12, s3
	s_mul_i32 s15, s13, s3
	s_wait_alu 0xfffe
	s_add_nc_u64 s[0:1], s[28:29], s[0:1]
	s_mul_hi_u32 s3, s13, s3
	s_wait_alu 0xfffe
	s_add_co_u32 s0, s0, s15
	s_add_co_ci_u32 s28, s1, s3
	s_add_co_ci_u32 s3, s14, 0
	s_wait_alu 0xfffe
	s_add_nc_u64 s[0:1], s[28:29], s[2:3]
	s_wait_alu 0xfffe
	s_mov_b32 s28, ttmp9
	s_mul_u64 s[2:3], s[0:1], 7
	s_wait_alu 0xfffe
	v_sub_co_u32 v1, s2, s12, s2
	s_delay_alu instid0(VALU_DEP_1) | instskip(SKIP_1) | instid1(VALU_DEP_1)
	s_cmp_lg_u32 s2, 0
	s_sub_co_ci_u32 s14, s13, s3
	v_sub_co_u32 v2, s12, v1, 7
	s_delay_alu instid0(VALU_DEP_1) | instskip(SKIP_2) | instid1(VALU_DEP_2)
	s_cmp_lg_u32 s12, 0
	v_readfirstlane_b32 s16, v1
	s_sub_co_ci_u32 s12, s14, 0
	v_readfirstlane_b32 s2, v2
	s_delay_alu instid0(VALU_DEP_1)
	s_cmp_gt_u32 s2, 6
	s_add_nc_u64 s[2:3], s[0:1], 1
	s_cselect_b32 s15, -1, 0
	s_wait_alu 0xfffe
	s_cmp_eq_u32 s12, 0
	s_add_nc_u64 s[12:13], s[0:1], 2
	s_cselect_b32 s15, s15, -1
	s_delay_alu instid0(SALU_CYCLE_1)
	s_cmp_lg_u32 s15, 0
	s_wait_alu 0xfffe
	s_cselect_b32 s2, s12, s2
	s_cselect_b32 s3, s13, s3
	s_cmp_gt_u32 s16, 6
	s_cselect_b32 s12, -1, 0
	s_cmp_eq_u32 s14, 0
	s_wait_alu 0xfffe
	s_cselect_b32 s12, s12, -1
	s_wait_alu 0xfffe
	s_cmp_lg_u32 s12, 0
	s_cselect_b32 s1, s3, s1
	s_cselect_b32 s0, s2, s0
	s_wait_alu 0xfffe
	s_add_nc_u64 s[30:31], s[0:1], 1
	s_delay_alu instid0(SALU_CYCLE_1) | instskip(NEXT) | instid1(VALU_DEP_1)
	v_cmp_lt_u64_e64 s0, s[28:29], s[30:31]
	s_and_b32 vcc_lo, exec_lo, s0
	s_wait_alu 0xfffe
	s_cbranch_vccnz .LBB0_5
; %bb.4:
	v_cvt_f32_u32_e32 v1, s30
	s_sub_co_i32 s1, 0, s30
	s_mov_b32 s19, s29
	s_delay_alu instid0(VALU_DEP_1) | instskip(NEXT) | instid1(TRANS32_DEP_1)
	v_rcp_iflag_f32_e32 v1, v1
	v_mul_f32_e32 v1, 0x4f7ffffe, v1
	s_delay_alu instid0(VALU_DEP_1) | instskip(NEXT) | instid1(VALU_DEP_1)
	v_cvt_u32_f32_e32 v1, v1
	v_readfirstlane_b32 s0, v1
	s_wait_alu 0xfffe
	s_delay_alu instid0(VALU_DEP_1)
	s_mul_i32 s1, s1, s0
	s_wait_alu 0xfffe
	s_mul_hi_u32 s1, s0, s1
	s_wait_alu 0xfffe
	s_add_co_i32 s0, s0, s1
	s_wait_alu 0xfffe
	s_mul_hi_u32 s0, s28, s0
	s_wait_alu 0xfffe
	s_mul_i32 s1, s0, s30
	s_add_co_i32 s2, s0, 1
	s_wait_alu 0xfffe
	s_sub_co_i32 s1, s28, s1
	s_wait_alu 0xfffe
	s_sub_co_i32 s3, s1, s30
	s_cmp_ge_u32 s1, s30
	s_cselect_b32 s0, s2, s0
	s_wait_alu 0xfffe
	s_cselect_b32 s1, s3, s1
	s_add_co_i32 s2, s0, 1
	s_wait_alu 0xfffe
	s_cmp_ge_u32 s1, s30
	s_cselect_b32 s18, s2, s0
.LBB0_5:
	s_load_b128 s[12:15], s[10:11], 0x0
	s_load_b128 s[0:3], s[24:25], 0x0
	s_wait_kmcnt 0x0
	v_cmp_lt_u64_e64 s13, s[6:7], 3
	s_mul_u64 s[16:17], s[18:19], s[30:31]
	s_delay_alu instid0(SALU_CYCLE_1) | instskip(NEXT) | instid1(SALU_CYCLE_1)
	s_sub_nc_u64 s[16:17], s[28:29], s[16:17]
	s_mul_u64 s[36:37], s[16:17], 7
	s_delay_alu instid0(VALU_DEP_1)
	s_and_b32 vcc_lo, exec_lo, s13
	s_mul_u64 s[34:35], s[14:15], s[36:37]
	s_mul_u64 s[16:17], s[2:3], s[36:37]
	s_wait_alu 0xfffe
	s_cbranch_vccnz .LBB0_15
; %bb.6:
	s_add_nc_u64 s[38:39], s[24:25], 16
	s_add_nc_u64 s[40:41], s[10:11], 16
	;; [unrolled: 1-line block ×3, first 2 shown]
	s_mov_b64 s[42:43], 2
	s_mov_b32 s44, 0
.LBB0_7:                                ; =>This Inner Loop Header: Depth=1
	s_load_b64 s[46:47], s[8:9], 0x0
                                        ; implicit-def: $sgpr50_sgpr51
	s_wait_kmcnt 0x0
	s_or_b64 s[48:49], s[18:19], s[46:47]
	s_delay_alu instid0(SALU_CYCLE_1)
	s_mov_b32 s45, s49
	s_mov_b32 s49, -1
	s_cmp_lg_u64 s[44:45], 0
	s_cbranch_scc0 .LBB0_9
; %bb.8:                                ;   in Loop: Header=BB0_7 Depth=1
	s_cvt_f32_u32 s13, s46
	s_cvt_f32_u32 s33, s47
	s_sub_nc_u64 s[52:53], 0, s[46:47]
	s_mov_b32 s49, 0
	s_mov_b32 s57, s44
	s_wait_alu 0xfffe
	s_fmamk_f32 s13, s33, 0x4f800000, s13
	s_wait_alu 0xfffe
	s_delay_alu instid0(SALU_CYCLE_2) | instskip(NEXT) | instid1(TRANS32_DEP_1)
	v_s_rcp_f32 s13, s13
	s_mul_f32 s13, s13, 0x5f7ffffc
	s_wait_alu 0xfffe
	s_delay_alu instid0(SALU_CYCLE_2) | instskip(NEXT) | instid1(SALU_CYCLE_3)
	s_mul_f32 s33, s13, 0x2f800000
	s_trunc_f32 s33, s33
	s_delay_alu instid0(SALU_CYCLE_3) | instskip(SKIP_2) | instid1(SALU_CYCLE_1)
	s_fmamk_f32 s13, s33, 0xcf800000, s13
	s_cvt_u32_f32 s51, s33
	s_wait_alu 0xfffe
	s_cvt_u32_f32 s50, s13
	s_wait_alu 0xfffe
	s_delay_alu instid0(SALU_CYCLE_2)
	s_mul_u64 s[54:55], s[52:53], s[50:51]
	s_wait_alu 0xfffe
	s_mul_hi_u32 s59, s50, s55
	s_mul_i32 s58, s50, s55
	s_mul_hi_u32 s48, s50, s54
	s_mul_i32 s33, s51, s54
	s_add_nc_u64 s[58:59], s[48:49], s[58:59]
	s_mul_hi_u32 s13, s51, s54
	s_mul_hi_u32 s45, s51, s55
	s_add_co_u32 s33, s58, s33
	s_wait_alu 0xfffe
	s_add_co_ci_u32 s56, s59, s13
	s_mul_i32 s54, s51, s55
	s_add_co_ci_u32 s55, s45, 0
	s_wait_alu 0xfffe
	s_add_nc_u64 s[54:55], s[56:57], s[54:55]
	s_wait_alu 0xfffe
	v_add_co_u32 v1, s13, s50, s54
	s_delay_alu instid0(VALU_DEP_1) | instskip(SKIP_1) | instid1(VALU_DEP_1)
	s_cmp_lg_u32 s13, 0
	s_add_co_ci_u32 s51, s51, s55
	v_readfirstlane_b32 s50, v1
	s_mov_b32 s55, s44
	s_wait_alu 0xfffe
	s_delay_alu instid0(VALU_DEP_1)
	s_mul_u64 s[52:53], s[52:53], s[50:51]
	s_wait_alu 0xfffe
	s_mul_hi_u32 s57, s50, s53
	s_mul_i32 s56, s50, s53
	s_mul_hi_u32 s48, s50, s52
	s_mul_i32 s33, s51, s52
	s_add_nc_u64 s[56:57], s[48:49], s[56:57]
	s_mul_hi_u32 s13, s51, s52
	s_mul_hi_u32 s45, s51, s53
	s_add_co_u32 s33, s56, s33
	s_wait_alu 0xfffe
	s_add_co_ci_u32 s54, s57, s13
	s_mul_i32 s52, s51, s53
	s_add_co_ci_u32 s53, s45, 0
	s_wait_alu 0xfffe
	s_add_nc_u64 s[52:53], s[54:55], s[52:53]
	s_wait_alu 0xfffe
	v_add_co_u32 v1, s13, v1, s52
	s_delay_alu instid0(VALU_DEP_1) | instskip(SKIP_1) | instid1(VALU_DEP_1)
	s_cmp_lg_u32 s13, 0
	s_add_co_ci_u32 s13, s51, s53
	v_readfirstlane_b32 s33, v1
	s_wait_alu 0xfffe
	s_mul_hi_u32 s51, s18, s13
	s_mul_i32 s50, s18, s13
	s_mul_hi_u32 s45, s19, s13
	s_mul_i32 s52, s19, s13
	s_mul_hi_u32 s48, s18, s33
	s_mul_i32 s13, s19, s33
	s_wait_alu 0xfffe
	s_add_nc_u64 s[50:51], s[48:49], s[50:51]
	s_mul_hi_u32 s33, s19, s33
	s_wait_alu 0xfffe
	s_add_co_u32 s13, s50, s13
	s_add_co_ci_u32 s54, s51, s33
	s_add_co_ci_u32 s53, s45, 0
	s_wait_alu 0xfffe
	s_add_nc_u64 s[50:51], s[54:55], s[52:53]
	s_wait_alu 0xfffe
	s_mul_u64 s[52:53], s[46:47], s[50:51]
	s_add_nc_u64 s[54:55], s[50:51], 1
	s_wait_alu 0xfffe
	v_sub_co_u32 v1, s13, s18, s52
	s_sub_co_i32 s33, s19, s53
	s_cmp_lg_u32 s13, 0
	s_add_nc_u64 s[56:57], s[50:51], 2
	s_delay_alu instid0(VALU_DEP_1) | instskip(SKIP_2) | instid1(VALU_DEP_1)
	v_sub_co_u32 v2, s45, v1, s46
	s_sub_co_ci_u32 s33, s33, s47
	s_cmp_lg_u32 s45, 0
	v_readfirstlane_b32 s45, v2
	s_sub_co_ci_u32 s33, s33, 0
	s_delay_alu instid0(SALU_CYCLE_1) | instskip(SKIP_1) | instid1(VALU_DEP_1)
	s_cmp_ge_u32 s33, s47
	s_cselect_b32 s48, -1, 0
	s_cmp_ge_u32 s45, s46
	s_cselect_b32 s45, -1, 0
	s_cmp_eq_u32 s33, s47
	s_cselect_b32 s33, s45, s48
	s_delay_alu instid0(SALU_CYCLE_1)
	s_cmp_lg_u32 s33, 0
	s_cselect_b32 s33, s56, s54
	s_cselect_b32 s45, s57, s55
	s_cmp_lg_u32 s13, 0
	v_readfirstlane_b32 s13, v1
	s_sub_co_ci_u32 s48, s19, s53
	s_delay_alu instid0(SALU_CYCLE_1) | instskip(SKIP_1) | instid1(VALU_DEP_1)
	s_cmp_ge_u32 s48, s47
	s_cselect_b32 s52, -1, 0
	s_cmp_ge_u32 s13, s46
	s_cselect_b32 s13, -1, 0
	s_cmp_eq_u32 s48, s47
	s_wait_alu 0xfffe
	s_cselect_b32 s13, s13, s52
	s_wait_alu 0xfffe
	s_cmp_lg_u32 s13, 0
	s_cselect_b32 s51, s45, s51
	s_cselect_b32 s50, s33, s50
.LBB0_9:                                ;   in Loop: Header=BB0_7 Depth=1
	s_and_not1_b32 vcc_lo, exec_lo, s49
	s_wait_alu 0xfffe
	s_cbranch_vccnz .LBB0_11
; %bb.10:                               ;   in Loop: Header=BB0_7 Depth=1
	v_cvt_f32_u32_e32 v1, s46
	s_sub_co_i32 s33, 0, s46
	s_mov_b32 s51, s44
	s_delay_alu instid0(VALU_DEP_1) | instskip(NEXT) | instid1(TRANS32_DEP_1)
	v_rcp_iflag_f32_e32 v1, v1
	v_mul_f32_e32 v1, 0x4f7ffffe, v1
	s_delay_alu instid0(VALU_DEP_1) | instskip(NEXT) | instid1(VALU_DEP_1)
	v_cvt_u32_f32_e32 v1, v1
	v_readfirstlane_b32 s13, v1
	s_delay_alu instid0(VALU_DEP_1) | instskip(NEXT) | instid1(SALU_CYCLE_1)
	s_mul_i32 s33, s33, s13
	s_mul_hi_u32 s33, s13, s33
	s_delay_alu instid0(SALU_CYCLE_1)
	s_add_co_i32 s13, s13, s33
	s_wait_alu 0xfffe
	s_mul_hi_u32 s13, s18, s13
	s_wait_alu 0xfffe
	s_mul_i32 s33, s13, s46
	s_add_co_i32 s45, s13, 1
	s_sub_co_i32 s33, s18, s33
	s_delay_alu instid0(SALU_CYCLE_1)
	s_sub_co_i32 s48, s33, s46
	s_cmp_ge_u32 s33, s46
	s_cselect_b32 s13, s45, s13
	s_cselect_b32 s33, s48, s33
	s_wait_alu 0xfffe
	s_add_co_i32 s45, s13, 1
	s_cmp_ge_u32 s33, s46
	s_cselect_b32 s50, s45, s13
.LBB0_11:                               ;   in Loop: Header=BB0_7 Depth=1
	s_load_b64 s[48:49], s[40:41], 0x0
	s_load_b64 s[52:53], s[38:39], 0x0
	s_add_nc_u64 s[42:43], s[42:43], 1
	s_mul_u64 s[30:31], s[46:47], s[30:31]
	s_wait_alu 0xfffe
	v_cmp_ge_u64_e64 s13, s[42:43], s[6:7]
	s_mul_u64 s[46:47], s[50:51], s[46:47]
	s_add_nc_u64 s[38:39], s[38:39], 8
	s_wait_alu 0xfffe
	s_sub_nc_u64 s[18:19], s[18:19], s[46:47]
	s_add_nc_u64 s[40:41], s[40:41], 8
	s_add_nc_u64 s[8:9], s[8:9], 8
	s_and_b32 vcc_lo, exec_lo, s13
	s_wait_kmcnt 0x0
	s_wait_alu 0xfffe
	s_mul_u64 s[46:47], s[48:49], s[18:19]
	s_mul_u64 s[18:19], s[52:53], s[18:19]
	s_wait_alu 0xfffe
	s_add_nc_u64 s[34:35], s[46:47], s[34:35]
	s_add_nc_u64 s[16:17], s[18:19], s[16:17]
	s_cbranch_vccnz .LBB0_13
; %bb.12:                               ;   in Loop: Header=BB0_7 Depth=1
	s_mov_b64 s[18:19], s[50:51]
	s_branch .LBB0_7
.LBB0_13:
	v_cmp_lt_u64_e64 s8, s[28:29], s[30:31]
	s_mov_b64 s[18:19], 0
	s_delay_alu instid0(VALU_DEP_1)
	s_and_b32 vcc_lo, exec_lo, s8
	s_wait_alu 0xfffe
	s_cbranch_vccnz .LBB0_15
; %bb.14:
	v_cvt_f32_u32_e32 v1, s30
	s_sub_co_i32 s9, 0, s30
	s_mov_b32 s19, 0
	s_delay_alu instid0(VALU_DEP_1) | instskip(NEXT) | instid1(TRANS32_DEP_1)
	v_rcp_iflag_f32_e32 v1, v1
	v_mul_f32_e32 v1, 0x4f7ffffe, v1
	s_delay_alu instid0(VALU_DEP_1) | instskip(NEXT) | instid1(VALU_DEP_1)
	v_cvt_u32_f32_e32 v1, v1
	v_readfirstlane_b32 s8, v1
	s_delay_alu instid0(VALU_DEP_1) | instskip(NEXT) | instid1(SALU_CYCLE_1)
	s_mul_i32 s9, s9, s8
	s_mul_hi_u32 s9, s8, s9
	s_delay_alu instid0(SALU_CYCLE_1) | instskip(NEXT) | instid1(SALU_CYCLE_1)
	s_add_co_i32 s8, s8, s9
	s_mul_hi_u32 s8, s28, s8
	s_delay_alu instid0(SALU_CYCLE_1) | instskip(SKIP_2) | instid1(SALU_CYCLE_1)
	s_mul_i32 s9, s8, s30
	s_add_co_i32 s13, s8, 1
	s_sub_co_i32 s9, s28, s9
	s_sub_co_i32 s18, s9, s30
	s_cmp_ge_u32 s9, s30
	s_wait_alu 0xfffe
	s_cselect_b32 s8, s13, s8
	s_cselect_b32 s9, s18, s9
	s_add_co_i32 s13, s8, 1
	s_cmp_ge_u32 s9, s30
	s_wait_alu 0xfffe
	s_cselect_b32 s18, s13, s8
.LBB0_15:
	v_mul_hi_u32 v19, 0x24924925, v0
	s_lshl_b64 s[6:7], s[6:7], 3
	v_dual_mov_b32 v6, 0 :: v_dual_mov_b32 v13, 0
	s_wait_alu 0xfffe
	s_add_nc_u64 s[8:9], s[10:11], s[6:7]
	s_load_b64 s[8:9], s[8:9], 0x0
	s_delay_alu instid0(VALU_DEP_2) | instskip(NEXT) | instid1(VALU_DEP_1)
	v_mul_u32_u24_e32 v1, 7, v19
	v_sub_nc_u32_e32 v34, v0, v1
	s_delay_alu instid0(VALU_DEP_1) | instskip(NEXT) | instid1(VALU_DEP_1)
	v_add_co_u32 v17, s10, s36, v34
	v_add_co_ci_u32_e64 v18, null, s37, 0, s10
	s_add_nc_u64 s[10:11], s[36:37], 7
	v_mad_co_u64_u32 v[1:2], null, s14, v34, 0
	s_wait_alu 0xfffe
	v_cmp_le_u64_e64 s10, s[10:11], s[26:27]
	v_cmp_gt_u64_e32 vcc_lo, s[26:27], v[17:18]
	s_wait_kmcnt 0x0
	s_mul_u64 s[8:9], s[8:9], s[18:19]
	s_delay_alu instid0(SALU_CYCLE_1) | instskip(NEXT) | instid1(VALU_DEP_3)
	s_add_nc_u64 s[8:9], s[8:9], s[34:35]
	v_mad_co_u64_u32 v[2:3], null, s15, v34, v[2:3]
	s_or_b32 s9, s10, vcc_lo
	s_delay_alu instid0(SALU_CYCLE_1)
	s_and_saveexec_b32 s10, s9
	s_cbranch_execz .LBB0_17
; %bb.16:
	v_mul_lo_u32 v2, s12, v19
	v_mov_b32_e32 v3, 0
	s_delay_alu instid0(VALU_DEP_2) | instskip(NEXT) | instid1(VALU_DEP_1)
	v_add3_u32 v2, s8, v1, v2
	v_lshlrev_b64_e32 v[2:3], 2, v[2:3]
	s_delay_alu instid0(VALU_DEP_1) | instskip(SKIP_1) | instid1(VALU_DEP_2)
	v_add_co_u32 v2, vcc_lo, s22, v2
	s_wait_alu 0xfffd
	v_add_co_ci_u32_e32 v3, vcc_lo, s23, v3, vcc_lo
	global_load_b32 v13, v[2:3], off
.LBB0_17:
	s_wait_alu 0xfffe
	s_or_b32 exec_lo, exec_lo, s10
	s_and_saveexec_b32 s10, s9
	s_cbranch_execz .LBB0_19
; %bb.18:
	v_dual_mov_b32 v3, 0 :: v_dual_add_nc_u32 v2, 17, v19
	s_delay_alu instid0(VALU_DEP_1) | instskip(NEXT) | instid1(VALU_DEP_1)
	v_mul_lo_u32 v2, s12, v2
	v_add3_u32 v2, s8, v1, v2
	s_delay_alu instid0(VALU_DEP_1) | instskip(NEXT) | instid1(VALU_DEP_1)
	v_lshlrev_b64_e32 v[2:3], 2, v[2:3]
	v_add_co_u32 v2, vcc_lo, s22, v2
	s_wait_alu 0xfffd
	s_delay_alu instid0(VALU_DEP_2)
	v_add_co_ci_u32_e32 v3, vcc_lo, s23, v3, vcc_lo
	global_load_b32 v6, v[2:3], off
.LBB0_19:
	s_wait_alu 0xfffe
	s_or_b32 exec_lo, exec_lo, s10
	v_dual_mov_b32 v12, 0 :: v_dual_mov_b32 v15, 0
	s_and_saveexec_b32 s10, s9
	s_cbranch_execz .LBB0_21
; %bb.20:
	v_dual_mov_b32 v3, 0 :: v_dual_add_nc_u32 v2, 34, v19
	s_delay_alu instid0(VALU_DEP_1) | instskip(NEXT) | instid1(VALU_DEP_1)
	v_mul_lo_u32 v2, s12, v2
	v_add3_u32 v2, s8, v1, v2
	s_delay_alu instid0(VALU_DEP_1) | instskip(NEXT) | instid1(VALU_DEP_1)
	v_lshlrev_b64_e32 v[2:3], 2, v[2:3]
	v_add_co_u32 v2, vcc_lo, s22, v2
	s_wait_alu 0xfffd
	s_delay_alu instid0(VALU_DEP_2)
	v_add_co_ci_u32_e32 v3, vcc_lo, s23, v3, vcc_lo
	global_load_b32 v15, v[2:3], off
.LBB0_21:
	s_wait_alu 0xfffe
	s_or_b32 exec_lo, exec_lo, s10
	s_and_saveexec_b32 s10, s9
	s_cbranch_execz .LBB0_23
; %bb.22:
	v_dual_mov_b32 v3, 0 :: v_dual_add_nc_u32 v2, 51, v19
	s_delay_alu instid0(VALU_DEP_1) | instskip(NEXT) | instid1(VALU_DEP_1)
	v_mul_lo_u32 v2, s12, v2
	v_add3_u32 v2, s8, v1, v2
	s_delay_alu instid0(VALU_DEP_1) | instskip(NEXT) | instid1(VALU_DEP_1)
	v_lshlrev_b64_e32 v[2:3], 2, v[2:3]
	v_add_co_u32 v2, vcc_lo, s22, v2
	s_wait_alu 0xfffd
	s_delay_alu instid0(VALU_DEP_2)
	v_add_co_ci_u32_e32 v3, vcc_lo, s23, v3, vcc_lo
	global_load_b32 v12, v[2:3], off
.LBB0_23:
	s_wait_alu 0xfffe
	s_or_b32 exec_lo, exec_lo, s10
	v_mov_b32_e32 v8, 0
	v_mov_b32_e32 v10, 0
	s_and_saveexec_b32 s10, s9
	s_cbranch_execz .LBB0_25
; %bb.24:
	v_dual_mov_b32 v3, 0 :: v_dual_add_nc_u32 v2, 0x44, v19
	s_delay_alu instid0(VALU_DEP_1) | instskip(NEXT) | instid1(VALU_DEP_1)
	v_mul_lo_u32 v2, s12, v2
	v_add3_u32 v2, s8, v1, v2
	s_delay_alu instid0(VALU_DEP_1) | instskip(NEXT) | instid1(VALU_DEP_1)
	v_lshlrev_b64_e32 v[2:3], 2, v[2:3]
	v_add_co_u32 v2, vcc_lo, s22, v2
	s_wait_alu 0xfffd
	s_delay_alu instid0(VALU_DEP_2)
	v_add_co_ci_u32_e32 v3, vcc_lo, s23, v3, vcc_lo
	global_load_b32 v10, v[2:3], off
.LBB0_25:
	s_wait_alu 0xfffe
	s_or_b32 exec_lo, exec_lo, s10
	s_and_saveexec_b32 s10, s9
	s_cbranch_execz .LBB0_27
; %bb.26:
	v_dual_mov_b32 v3, 0 :: v_dual_add_nc_u32 v2, 0x55, v19
	s_delay_alu instid0(VALU_DEP_1) | instskip(NEXT) | instid1(VALU_DEP_1)
	v_mul_lo_u32 v2, s12, v2
	v_add3_u32 v2, s8, v1, v2
	s_delay_alu instid0(VALU_DEP_1) | instskip(NEXT) | instid1(VALU_DEP_1)
	v_lshlrev_b64_e32 v[2:3], 2, v[2:3]
	v_add_co_u32 v2, vcc_lo, s22, v2
	s_wait_alu 0xfffd
	s_delay_alu instid0(VALU_DEP_2)
	v_add_co_ci_u32_e32 v3, vcc_lo, s23, v3, vcc_lo
	global_load_b32 v8, v[2:3], off
.LBB0_27:
	s_wait_alu 0xfffe
	s_or_b32 exec_lo, exec_lo, s10
	v_dual_mov_b32 v4, 0 :: v_dual_mov_b32 v7, 0
	s_and_saveexec_b32 s10, s9
	s_cbranch_execz .LBB0_29
; %bb.28:
	v_dual_mov_b32 v3, 0 :: v_dual_add_nc_u32 v2, 0x66, v19
	s_delay_alu instid0(VALU_DEP_1) | instskip(NEXT) | instid1(VALU_DEP_1)
	v_mul_lo_u32 v2, s12, v2
	v_add3_u32 v2, s8, v1, v2
	s_delay_alu instid0(VALU_DEP_1) | instskip(NEXT) | instid1(VALU_DEP_1)
	v_lshlrev_b64_e32 v[2:3], 2, v[2:3]
	v_add_co_u32 v2, vcc_lo, s22, v2
	s_wait_alu 0xfffd
	s_delay_alu instid0(VALU_DEP_2)
	v_add_co_ci_u32_e32 v3, vcc_lo, s23, v3, vcc_lo
	global_load_b32 v7, v[2:3], off
.LBB0_29:
	s_wait_alu 0xfffe
	s_or_b32 exec_lo, exec_lo, s10
	s_and_saveexec_b32 s10, s9
	s_cbranch_execz .LBB0_31
; %bb.30:
	v_dual_mov_b32 v3, 0 :: v_dual_add_nc_u32 v2, 0x77, v19
	s_delay_alu instid0(VALU_DEP_1) | instskip(NEXT) | instid1(VALU_DEP_1)
	v_mul_lo_u32 v2, s12, v2
	v_add3_u32 v2, s8, v1, v2
	s_delay_alu instid0(VALU_DEP_1) | instskip(NEXT) | instid1(VALU_DEP_1)
	v_lshlrev_b64_e32 v[2:3], 2, v[2:3]
	v_add_co_u32 v2, vcc_lo, s22, v2
	s_wait_alu 0xfffd
	s_delay_alu instid0(VALU_DEP_2)
	v_add_co_ci_u32_e32 v3, vcc_lo, s23, v3, vcc_lo
	global_load_b32 v4, v[2:3], off
.LBB0_31:
	s_wait_alu 0xfffe
	s_or_b32 exec_lo, exec_lo, s10
	v_dual_mov_b32 v2, 0 :: v_dual_mov_b32 v3, 0
	s_and_saveexec_b32 s10, s9
	s_cbranch_execz .LBB0_33
; %bb.32:
	v_add_nc_u32_e32 v3, 0x88, v19
	v_mov_b32_e32 v21, 0
	s_delay_alu instid0(VALU_DEP_2) | instskip(NEXT) | instid1(VALU_DEP_1)
	v_mul_lo_u32 v3, s12, v3
	v_add3_u32 v20, s8, v1, v3
	s_delay_alu instid0(VALU_DEP_1) | instskip(NEXT) | instid1(VALU_DEP_1)
	v_lshlrev_b64_e32 v[20:21], 2, v[20:21]
	v_add_co_u32 v20, vcc_lo, s22, v20
	s_wait_alu 0xfffd
	s_delay_alu instid0(VALU_DEP_2)
	v_add_co_ci_u32_e32 v21, vcc_lo, s23, v21, vcc_lo
	global_load_b32 v3, v[20:21], off
.LBB0_33:
	s_wait_alu 0xfffe
	s_or_b32 exec_lo, exec_lo, s10
	s_and_saveexec_b32 s10, s9
	s_cbranch_execz .LBB0_35
; %bb.34:
	v_dual_mov_b32 v21, 0 :: v_dual_add_nc_u32 v2, 0x99, v19
	s_delay_alu instid0(VALU_DEP_1) | instskip(NEXT) | instid1(VALU_DEP_1)
	v_mul_lo_u32 v2, s12, v2
	v_add3_u32 v20, s8, v1, v2
	s_delay_alu instid0(VALU_DEP_1) | instskip(NEXT) | instid1(VALU_DEP_1)
	v_lshlrev_b64_e32 v[20:21], 2, v[20:21]
	v_add_co_u32 v20, vcc_lo, s22, v20
	s_wait_alu 0xfffd
	s_delay_alu instid0(VALU_DEP_2)
	v_add_co_ci_u32_e32 v21, vcc_lo, s23, v21, vcc_lo
	global_load_b32 v2, v[20:21], off
.LBB0_35:
	s_wait_alu 0xfffe
	s_or_b32 exec_lo, exec_lo, s10
	v_mov_b32_e32 v9, 0
	v_mov_b32_e32 v5, 0
	s_and_saveexec_b32 s10, s9
	s_cbranch_execz .LBB0_37
; %bb.36:
	v_add_nc_u32_e32 v5, 0xaa, v19
	v_mov_b32_e32 v21, 0
	s_delay_alu instid0(VALU_DEP_2) | instskip(NEXT) | instid1(VALU_DEP_1)
	v_mul_lo_u32 v5, s12, v5
	v_add3_u32 v20, s8, v1, v5
	s_delay_alu instid0(VALU_DEP_1) | instskip(NEXT) | instid1(VALU_DEP_1)
	v_lshlrev_b64_e32 v[20:21], 2, v[20:21]
	v_add_co_u32 v20, vcc_lo, s22, v20
	s_wait_alu 0xfffd
	s_delay_alu instid0(VALU_DEP_2)
	v_add_co_ci_u32_e32 v21, vcc_lo, s23, v21, vcc_lo
	global_load_b32 v5, v[20:21], off
.LBB0_37:
	s_wait_alu 0xfffe
	s_or_b32 exec_lo, exec_lo, s10
	s_and_saveexec_b32 s10, s9
	s_cbranch_execz .LBB0_39
; %bb.38:
	v_add_nc_u32_e32 v9, 0xbb, v19
	v_mov_b32_e32 v21, 0
	s_delay_alu instid0(VALU_DEP_2) | instskip(NEXT) | instid1(VALU_DEP_1)
	v_mul_lo_u32 v9, s12, v9
	v_add3_u32 v20, s8, v1, v9
	s_delay_alu instid0(VALU_DEP_1) | instskip(NEXT) | instid1(VALU_DEP_1)
	v_lshlrev_b64_e32 v[20:21], 2, v[20:21]
	v_add_co_u32 v20, vcc_lo, s22, v20
	s_wait_alu 0xfffd
	s_delay_alu instid0(VALU_DEP_2)
	v_add_co_ci_u32_e32 v21, vcc_lo, s23, v21, vcc_lo
	global_load_b32 v9, v[20:21], off
.LBB0_39:
	s_wait_alu 0xfffe
	s_or_b32 exec_lo, exec_lo, s10
	v_dual_mov_b32 v14, 0 :: v_dual_mov_b32 v11, 0
	s_and_saveexec_b32 s10, s9
	s_cbranch_execz .LBB0_41
; %bb.40:
	v_add_nc_u32_e32 v11, 0xcc, v19
	v_mov_b32_e32 v21, 0
	s_delay_alu instid0(VALU_DEP_2) | instskip(NEXT) | instid1(VALU_DEP_1)
	v_mul_lo_u32 v11, s12, v11
	v_add3_u32 v20, s8, v1, v11
	s_delay_alu instid0(VALU_DEP_1) | instskip(NEXT) | instid1(VALU_DEP_1)
	v_lshlrev_b64_e32 v[20:21], 2, v[20:21]
	v_add_co_u32 v20, vcc_lo, s22, v20
	s_wait_alu 0xfffd
	s_delay_alu instid0(VALU_DEP_2)
	v_add_co_ci_u32_e32 v21, vcc_lo, s23, v21, vcc_lo
	global_load_b32 v11, v[20:21], off
.LBB0_41:
	s_wait_alu 0xfffe
	s_or_b32 exec_lo, exec_lo, s10
	s_and_saveexec_b32 s10, s9
	s_cbranch_execz .LBB0_43
; %bb.42:
	v_dual_mov_b32 v21, 0 :: v_dual_add_nc_u32 v14, 0xdd, v19
	s_delay_alu instid0(VALU_DEP_1) | instskip(NEXT) | instid1(VALU_DEP_1)
	v_mul_lo_u32 v14, s12, v14
	v_add3_u32 v20, s8, v1, v14
	s_delay_alu instid0(VALU_DEP_1) | instskip(NEXT) | instid1(VALU_DEP_1)
	v_lshlrev_b64_e32 v[20:21], 2, v[20:21]
	v_add_co_u32 v20, vcc_lo, s22, v20
	s_wait_alu 0xfffd
	s_delay_alu instid0(VALU_DEP_2)
	v_add_co_ci_u32_e32 v21, vcc_lo, s23, v21, vcc_lo
	global_load_b32 v14, v[20:21], off
.LBB0_43:
	s_wait_alu 0xfffe
	s_or_b32 exec_lo, exec_lo, s10
	v_mov_b32_e32 v20, 0
	v_mov_b32_e32 v16, 0
	s_and_saveexec_b32 s10, s9
	s_cbranch_execz .LBB0_45
; %bb.44:
	v_add_nc_u32_e32 v16, 0xee, v19
	v_mov_b32_e32 v22, 0
	s_delay_alu instid0(VALU_DEP_2) | instskip(NEXT) | instid1(VALU_DEP_1)
	v_mul_lo_u32 v16, s12, v16
	v_add3_u32 v21, s8, v1, v16
	s_delay_alu instid0(VALU_DEP_1) | instskip(NEXT) | instid1(VALU_DEP_1)
	v_lshlrev_b64_e32 v[21:22], 2, v[21:22]
	v_add_co_u32 v21, vcc_lo, s22, v21
	s_wait_alu 0xfffd
	s_delay_alu instid0(VALU_DEP_2)
	v_add_co_ci_u32_e32 v22, vcc_lo, s23, v22, vcc_lo
	global_load_b32 v16, v[21:22], off
.LBB0_45:
	s_wait_alu 0xfffe
	s_or_b32 exec_lo, exec_lo, s10
	s_and_saveexec_b32 s10, s9
	s_cbranch_execz .LBB0_47
; %bb.46:
	v_dual_mov_b32 v21, 0 :: v_dual_add_nc_u32 v18, 0xff, v19
	s_delay_alu instid0(VALU_DEP_1) | instskip(NEXT) | instid1(VALU_DEP_1)
	v_mul_lo_u32 v18, s12, v18
	v_add3_u32 v20, s8, v1, v18
	s_delay_alu instid0(VALU_DEP_1) | instskip(NEXT) | instid1(VALU_DEP_1)
	v_lshlrev_b64_e32 v[20:21], 2, v[20:21]
	v_add_co_u32 v20, vcc_lo, s22, v20
	s_wait_alu 0xfffd
	s_delay_alu instid0(VALU_DEP_2)
	v_add_co_ci_u32_e32 v21, vcc_lo, s23, v21, vcc_lo
	global_load_b32 v20, v[20:21], off
.LBB0_47:
	s_wait_alu 0xfffe
	s_or_b32 exec_lo, exec_lo, s10
	v_mov_b32_e32 v21, 0
	s_add_nc_u64 s[6:7], s[24:25], s[6:7]
	s_and_saveexec_b32 s10, s9
	s_cbranch_execz .LBB0_49
; %bb.48:
	v_add_nc_u32_e32 v18, 0x110, v19
	v_mov_b32_e32 v22, 0
	s_delay_alu instid0(VALU_DEP_2) | instskip(NEXT) | instid1(VALU_DEP_1)
	v_mul_lo_u32 v18, s12, v18
	v_add3_u32 v21, s8, v1, v18
	s_delay_alu instid0(VALU_DEP_1) | instskip(NEXT) | instid1(VALU_DEP_1)
	v_lshlrev_b64_e32 v[21:22], 2, v[21:22]
	v_add_co_u32 v21, vcc_lo, s22, v21
	s_wait_alu 0xfffd
	s_delay_alu instid0(VALU_DEP_2)
	v_add_co_ci_u32_e32 v22, vcc_lo, s23, v22, vcc_lo
	global_load_b32 v21, v[21:22], off
.LBB0_49:
	s_wait_alu 0xfffe
	s_or_b32 exec_lo, exec_lo, s10
	s_wait_loadcnt 0x0
	v_pk_add_f16 v1, v13, v6
	v_pk_add_f16 v25, v6, v21 neg_lo:[0,1] neg_hi:[0,1]
	v_pk_add_f16 v26, v21, v6
	v_mul_u32_u24_e32 v23, 0x1dc, v19
	v_lshlrev_b32_e32 v18, 2, v34
	v_pk_add_f16 v24, v1, v15
	v_lshrrev_b32_e32 v22, 16, v21
	v_mul_f16_e32 v33, 0xba62, v25
	v_lshrrev_b32_e32 v27, 16, v13
	v_add3_u32 v1, 0, v23, v18
	v_pk_add_f16 v6, v24, v12
	v_lshrrev_b32_e32 v23, 16, v25
	v_lshrrev_b32_e32 v24, 16, v26
	v_mul_f16_e32 v28, 0xb5c8, v25
	v_mul_f16_e32 v29, 0xb964, v25
	v_pk_add_f16 v6, v6, v10
	v_mul_f16_e32 v36, 0xb5c8, v23
	v_mul_f16_e32 v38, 0xb964, v23
	;; [unrolled: 1-line block ×4, first 2 shown]
	v_pk_add_f16 v6, v6, v8
	v_mul_f16_e32 v44, 0xbbb2, v23
	v_mul_f16_e32 v46, 0xba62, v23
	;; [unrolled: 1-line block ×3, first 2 shown]
	v_fma_f16 v50, v26, 0x3722, -v40
	v_pk_add_f16 v6, v6, v7
	v_fma_f16 v51, v26, 0x2de8, -v42
	v_fma_f16 v52, v26, 0xb461, -v44
	;; [unrolled: 1-line block ×4, first 2 shown]
	v_pk_add_f16 v6, v6, v4
	v_mul_f16_e32 v30, 0xbb29, v25
	v_mul_f16_e32 v31, 0xbbf7, v25
	v_mul_f16_e32 v32, 0xbbb2, v25
	v_mul_f16_e32 v35, 0xb836, v25
	v_pk_add_f16 v6, v6, v3
	v_fmamk_f16 v47, v24, 0xb8d2, v33
	v_fmamk_f16 v37, v24, 0x3b76, v28
	v_fma_f16 v28, v24, 0x3b76, -v28
	v_fmamk_f16 v39, v24, 0x39e9, v29
	v_pk_add_f16 v6, v6, v2
	v_fma_f16 v29, v24, 0x39e9, -v29
	v_fmamk_f16 v41, v24, 0x3722, v30
	v_fma_f16 v30, v24, 0x3722, -v30
	v_fmamk_f16 v43, v24, 0x2de8, v31
	v_pk_add_f16 v6, v6, v5
	v_fma_f16 v31, v24, 0x2de8, -v31
	v_fmamk_f16 v45, v24, 0xb461, v32
	v_fma_f16 v32, v24, 0xb461, -v32
	v_fma_f16 v33, v24, 0xb8d2, -v33
	v_pk_add_f16 v6, v6, v9
	v_pk_mul_f16 v25, 0xb1e1, v25 op_sel_hi:[0,1]
	v_fmac_f16_e32 v23, 0xbacd, v26
	v_fma_f16 v48, v26, 0x3b76, -v36
	v_add_f16_e32 v37, v37, v27
	v_pk_add_f16 v6, v6, v11
	v_fmac_f16_e32 v36, 0x3b76, v26
	v_add_f16_e32 v28, v28, v27
	v_fma_f16 v49, v26, 0x39e9, -v38
	v_add_f16_e32 v39, v39, v27
	v_pk_add_f16 v6, v6, v14
	v_fmac_f16_e32 v38, 0x39e9, v26
	v_add_f16_e32 v29, v29, v27
	v_add_f16_e32 v41, v41, v27
	v_fmac_f16_e32 v40, 0x3722, v26
	v_pk_add_f16 v6, v6, v16
	v_add_f16_e32 v30, v30, v27
	v_add_f16_e32 v43, v43, v27
	v_fmac_f16_e32 v42, 0x2de8, v26
	v_add_f16_e32 v31, v31, v27
	v_pk_add_f16 v6, v6, v20
	v_add_f16_e32 v45, v45, v27
	v_fmac_f16_e32 v44, 0xb461, v26
	v_add_f16_e32 v32, v32, v27
	v_fmac_f16_e32 v46, 0xb8d2, v26
	v_lshrrev_b32_e32 v55, 16, v6
	v_add_f16_e32 v6, v6, v21
	v_add_f16_e32 v48, v48, v13
	;; [unrolled: 1-line block ×7, first 2 shown]
	v_and_b32_e32 v6, 0xffff, v6
	v_add_f16_e32 v51, v52, v13
	v_lshlrev_b32_e32 v21, 16, v21
	v_add_f16_e32 v52, v53, v13
	v_add_f16_e32 v53, v54, v13
	v_pk_add_f16 v54, v15, v20 neg_lo:[0,1] neg_hi:[0,1]
	v_pk_fma_f16 v55, 0xbbdd, v26, v25 op_sel:[0,0,1] op_sel_hi:[0,1,0] neg_lo:[0,0,1] neg_hi:[0,0,1]
	v_or_b32_e32 v6, v21, v6
	v_add_f16_e32 v21, v47, v27
	v_fmamk_f16 v47, v24, 0xbacd, v35
	v_fma_f16 v24, v24, 0xbacd, -v35
	v_lshrrev_b32_e32 v35, 16, v54
	v_pk_fma_f16 v25, 0xbbdd, v26, v25 op_sel:[0,0,1] op_sel_hi:[0,1,0]
	v_pk_add_f16 v15, v15, v20
	v_add_f16_e32 v20, v23, v13
	v_add_f16_e32 v47, v47, v27
	v_mul_f16_e32 v23, 0xb964, v35
	v_add_f16_e32 v24, v24, v27
	v_bfi_b32 v26, 0xffff, v25, v55
	v_lshrrev_b32_e32 v27, 16, v15
	v_mul_f16_e32 v56, 0xb964, v54
	v_fma_f16 v57, v15, 0x39e9, -v23
	v_add_f16_e32 v49, v49, v13
	v_add_f16_e32 v38, v38, v13
	;; [unrolled: 1-line block ×6, first 2 shown]
	v_pk_add_f16 v55, v55, v13
	v_pk_add_f16 v25, v25, v13
	;; [unrolled: 1-line block ×3, first 2 shown]
	v_fmamk_f16 v26, v27, 0x39e9, v56
	v_add_f16_e32 v48, v57, v48
	v_mul_f16_e32 v57, 0xbbf7, v35
	v_fmac_f16_e32 v23, 0x39e9, v15
	v_fma_f16 v56, v27, 0x39e9, -v56
	v_add_f16_e32 v26, v26, v37
	v_mul_f16_e32 v37, 0xbbf7, v54
	v_fma_f16 v58, v15, 0x2de8, -v57
	v_add_f16_e32 v23, v23, v36
	v_mul_f16_e32 v36, 0xba62, v35
	v_add_f16_e32 v28, v56, v28
	v_fmamk_f16 v56, v27, 0x2de8, v37
	v_add_f16_e32 v49, v58, v49
	v_fmac_f16_e32 v57, 0x2de8, v15
	v_fma_f16 v58, v15, 0xb8d2, -v36
	v_fma_f16 v37, v27, 0x2de8, -v37
	v_add_f16_e32 v39, v56, v39
	v_mul_f16_e32 v56, 0xba62, v54
	v_fmac_f16_e32 v36, 0xb8d2, v15
	v_add_f16_e32 v22, v58, v22
	v_mul_f16_e32 v58, 0xb1e1, v54
	v_add_f16_e32 v38, v57, v38
	v_add_f16_e32 v29, v37, v29
	v_mul_f16_e32 v37, 0xb1e1, v35
	v_fmamk_f16 v57, v27, 0xb8d2, v56
	v_fma_f16 v56, v27, 0xb8d2, -v56
	v_add_f16_e32 v36, v36, v40
	v_fmamk_f16 v40, v27, 0xbbdd, v58
	v_fma_f16 v59, v15, 0xbbdd, -v37
	v_add_f16_e32 v41, v57, v41
	v_add_f16_e32 v30, v56, v30
	v_mul_f16_e32 v56, 0x3836, v35
	v_fmac_f16_e32 v37, 0xbbdd, v15
	v_fma_f16 v57, v27, 0xbbdd, -v58
	v_add_f16_e32 v40, v40, v43
	v_mul_f16_e32 v43, 0x3836, v54
	v_fma_f16 v58, v15, 0xbacd, -v56
	v_add_f16_e32 v37, v37, v42
	v_add_f16_e32 v31, v57, v31
	v_mul_f16_e32 v42, 0x3bb2, v35
	v_fmamk_f16 v57, v27, 0xbacd, v43
	v_add_f16_e32 v51, v58, v51
	v_fmac_f16_e32 v56, 0xbacd, v15
	v_fma_f16 v43, v27, 0xbacd, -v43
	v_fma_f16 v58, v15, 0xb461, -v42
	v_add_f16_e32 v45, v57, v45
	v_mul_f16_e32 v57, 0x3bb2, v54
	v_mul_f16_e32 v35, 0x3b29, v35
	v_add_f16_e32 v44, v56, v44
	v_add_f16_e32 v32, v43, v32
	;; [unrolled: 1-line block ×3, first 2 shown]
	v_fmamk_f16 v52, v27, 0xb461, v57
	v_fmac_f16_e32 v42, 0xb461, v15
	v_mul_f16_e32 v56, 0x3b29, v54
	v_fma_f16 v58, v15, 0x3722, -v35
	v_pk_mul_f16 v54, 0x35c8, v54 op_sel_hi:[0,1]
	v_add_f16_e32 v21, v52, v21
	v_add_f16_e32 v42, v42, v46
	v_fmamk_f16 v46, v27, 0x3722, v56
	v_add_f16_e32 v52, v58, v53
	v_pk_add_f16 v53, v12, v16 neg_lo:[0,1] neg_hi:[0,1]
	v_fmac_f16_e32 v35, 0x3722, v15
	v_pk_add_f16 v12, v12, v16
	v_add_f16_e32 v46, v46, v47
	v_fma_f16 v57, v27, 0xb461, -v57
	v_lshrrev_b32_e32 v47, 16, v53
	v_fma_f16 v27, v27, 0x3722, -v56
	v_pk_fma_f16 v56, 0x3b76, v15, v54 op_sel:[0,0,1] op_sel_hi:[0,1,0] neg_lo:[0,0,1] neg_hi:[0,0,1]
	v_pk_fma_f16 v15, 0x3b76, v15, v54 op_sel:[0,0,1] op_sel_hi:[0,1,0]
	v_add_f16_e32 v16, v35, v20
	v_mul_f16_e32 v20, 0xbb29, v47
	v_lshrrev_b32_e32 v35, 16, v12
	v_mul_f16_e32 v54, 0xbb29, v53
	v_add_f16_e32 v33, v57, v33
	v_add_f16_e32 v24, v27, v24
	v_bfi_b32 v27, 0xffff, v15, v56
	v_fma_f16 v57, v12, 0x3722, -v20
	v_pk_add_f16 v15, v15, v25
	v_fmamk_f16 v25, v35, 0x3722, v54
	v_fmac_f16_e32 v20, 0x3722, v12
	v_pk_add_f16 v13, v27, v13
	v_add_f16_e32 v27, v57, v48
	v_mul_f16_e32 v48, 0xba62, v47
	v_fma_f16 v54, v35, 0x3722, -v54
	v_add_f16_e32 v25, v25, v26
	v_mul_f16_e32 v26, 0xba62, v53
	v_pk_add_f16 v55, v56, v55
	v_fma_f16 v56, v12, 0xb8d2, -v48
	v_add_f16_e32 v20, v20, v23
	v_add_f16_e32 v23, v54, v28
	v_mul_f16_e32 v28, 0x31e1, v47
	v_fmamk_f16 v54, v35, 0xb8d2, v26
	v_fma_f16 v26, v35, 0xb8d2, -v26
	v_add_f16_e32 v49, v56, v49
	v_fmac_f16_e32 v48, 0xb8d2, v12
	v_fma_f16 v56, v12, 0xbbdd, -v28
	v_add_f16_e32 v39, v54, v39
	v_mul_f16_e32 v54, 0x31e1, v53
	v_add_f16_e32 v26, v26, v29
	v_mul_f16_e32 v29, 0x3bb2, v47
	v_add_f16_e32 v50, v59, v50
	v_add_f16_e32 v38, v48, v38
	;; [unrolled: 1-line block ×3, first 2 shown]
	v_fmamk_f16 v48, v35, 0xbbdd, v54
	v_fmac_f16_e32 v28, 0xbbdd, v12
	v_mul_f16_e32 v56, 0x3bb2, v53
	v_fma_f16 v57, v12, 0xb461, -v29
	v_fma_f16 v54, v35, 0xbbdd, -v54
	v_add_f16_e32 v41, v48, v41
	v_add_f16_e32 v28, v28, v36
	v_fmamk_f16 v36, v35, 0xb461, v56
	v_add_f16_e32 v48, v57, v50
	v_mul_f16_e32 v50, 0x3964, v47
	v_fmac_f16_e32 v29, 0xb461, v12
	v_add_f16_e32 v30, v54, v30
	v_fma_f16 v54, v35, 0xb461, -v56
	v_add_f16_e32 v36, v36, v40
	v_mul_f16_e32 v40, 0x3964, v53
	v_fma_f16 v56, v12, 0x39e9, -v50
	v_add_f16_e32 v29, v29, v37
	v_mul_f16_e32 v37, 0xb5c8, v47
	v_add_f16_e32 v31, v54, v31
	v_fmamk_f16 v54, v35, 0x39e9, v40
	v_add_f16_e32 v51, v56, v51
	v_fma_f16 v40, v35, 0x39e9, -v40
	v_fma_f16 v56, v12, 0x3b76, -v37
	v_fmac_f16_e32 v50, 0x39e9, v12
	v_add_f16_e32 v45, v54, v45
	v_mul_f16_e32 v54, 0xb5c8, v53
	v_add_f16_e32 v32, v40, v32
	v_add_f16_e32 v40, v56, v43
	v_mul_f16_e32 v43, 0xbbf7, v47
	v_add_f16_e32 v44, v50, v44
	v_fmamk_f16 v47, v35, 0x3b76, v54
	v_fmac_f16_e32 v37, 0x3b76, v12
	v_mul_f16_e32 v50, 0xbbf7, v53
	v_fma_f16 v56, v12, 0x2de8, -v43
	v_pk_mul_f16 v53, 0xb836, v53 op_sel_hi:[0,1]
	v_add_f16_e32 v21, v47, v21
	v_add_f16_e32 v37, v37, v42
	v_fmamk_f16 v42, v35, 0x2de8, v50
	v_add_f16_e32 v47, v56, v52
	v_pk_add_f16 v52, v10, v14 neg_lo:[0,1] neg_hi:[0,1]
	v_fmac_f16_e32 v43, 0x2de8, v12
	v_pk_add_f16 v10, v10, v14
	v_fma_f16 v54, v35, 0x3b76, -v54
	v_add_f16_e32 v42, v42, v46
	v_fma_f16 v35, v35, 0x2de8, -v50
	v_lshrrev_b32_e32 v46, 16, v52
	v_pk_fma_f16 v50, 0xbacd, v12, v53 op_sel:[0,0,1] op_sel_hi:[0,1,0] neg_lo:[0,0,1] neg_hi:[0,0,1]
	v_pk_fma_f16 v12, 0xbacd, v12, v53 op_sel:[0,0,1] op_sel_hi:[0,1,0]
	v_add_f16_e32 v14, v43, v16
	v_lshrrev_b32_e32 v43, 16, v10
	v_mul_f16_e32 v53, 0xbbf7, v52
	v_mul_f16_e32 v16, 0xbbf7, v46
	v_add_f16_e32 v24, v35, v24
	v_bfi_b32 v35, 0xffff, v12, v50
	v_pk_add_f16 v12, v12, v15
	v_fmamk_f16 v15, v43, 0x2de8, v53
	v_add_f16_e32 v33, v54, v33
	v_fma_f16 v54, v10, 0x2de8, -v16
	v_pk_add_f16 v13, v35, v13
	v_mul_f16_e32 v35, 0xb1e1, v46
	v_fmac_f16_e32 v16, 0x2de8, v10
	v_fma_f16 v53, v43, 0x2de8, -v53
	v_add_f16_e32 v15, v15, v25
	v_mul_f16_e32 v25, 0xb1e1, v52
	v_add_f16_e32 v27, v54, v27
	v_fma_f16 v54, v10, 0xbbdd, -v35
	v_add_f16_e32 v16, v16, v20
	v_add_f16_e32 v20, v53, v23
	v_mul_f16_e32 v23, 0x3bb2, v46
	v_fmamk_f16 v53, v43, 0xbbdd, v25
	v_fma_f16 v25, v43, 0xbbdd, -v25
	v_add_f16_e32 v49, v54, v49
	v_fmac_f16_e32 v35, 0xbbdd, v10
	v_fma_f16 v54, v10, 0xb461, -v23
	v_add_f16_e32 v39, v53, v39
	v_mul_f16_e32 v53, 0x3bb2, v52
	v_add_f16_e32 v25, v25, v26
	v_mul_f16_e32 v26, 0x35c8, v46
	v_pk_add_f16 v50, v50, v55
	v_add_f16_e32 v35, v35, v38
	v_add_f16_e32 v22, v54, v22
	v_fmamk_f16 v38, v43, 0xb461, v53
	v_fmac_f16_e32 v23, 0xb461, v10
	v_fma_f16 v53, v43, 0xb461, -v53
	v_mul_f16_e32 v54, 0x35c8, v52
	v_fma_f16 v55, v10, 0x3b76, -v26
	v_add_f16_e32 v38, v38, v41
	v_add_f16_e32 v23, v23, v28
	;; [unrolled: 1-line block ×3, first 2 shown]
	v_fmamk_f16 v30, v43, 0x3b76, v54
	v_add_f16_e32 v41, v55, v48
	v_mul_f16_e32 v48, 0xbb29, v46
	v_fmac_f16_e32 v26, 0x3b76, v10
	v_fma_f16 v53, v43, 0x3b76, -v54
	v_add_f16_e32 v30, v30, v36
	v_mul_f16_e32 v36, 0xbb29, v52
	v_fma_f16 v54, v10, 0x3722, -v48
	v_add_f16_e32 v26, v26, v29
	v_add_f16_e32 v29, v53, v31
	v_mul_f16_e32 v31, 0xb836, v46
	v_fmamk_f16 v53, v43, 0x3722, v36
	v_add_f16_e32 v51, v54, v51
	v_fmac_f16_e32 v48, 0x3722, v10
	v_fma_f16 v36, v43, 0x3722, -v36
	v_fma_f16 v54, v10, 0xbacd, -v31
	v_add_f16_e32 v45, v53, v45
	v_mul_f16_e32 v53, 0xb836, v52
	v_add_f16_e32 v44, v48, v44
	v_add_f16_e32 v32, v36, v32
	;; [unrolled: 1-line block ×3, first 2 shown]
	v_mul_f16_e32 v40, 0x3a62, v46
	v_fmac_f16_e32 v31, 0xbacd, v10
	v_mul_f16_e32 v48, 0x3a62, v52
	v_fmamk_f16 v46, v43, 0xbacd, v53
	v_pk_mul_f16 v52, 0x3964, v52 op_sel_hi:[0,1]
	v_fma_f16 v54, v10, 0xb8d2, -v40
	v_add_f16_e32 v31, v31, v37
	v_fmamk_f16 v37, v43, 0xb8d2, v48
	v_add_f16_e32 v21, v46, v21
	v_fmac_f16_e32 v40, 0xb8d2, v10
	v_add_f16_e32 v46, v54, v47
	v_pk_add_f16 v47, v8, v11 neg_lo:[0,1] neg_hi:[0,1]
	v_add_f16_e32 v37, v37, v42
	v_fma_f16 v42, v43, 0xb8d2, -v48
	v_pk_fma_f16 v48, 0x39e9, v10, v52 op_sel:[0,0,1] op_sel_hi:[0,1,0] neg_lo:[0,0,1] neg_hi:[0,0,1]
	v_pk_fma_f16 v10, 0x39e9, v10, v52 op_sel:[0,0,1] op_sel_hi:[0,1,0]
	v_pk_add_f16 v8, v8, v11
	v_fma_f16 v53, v43, 0xbacd, -v53
	v_lshrrev_b32_e32 v43, 16, v47
	v_add_f16_e32 v11, v40, v14
	v_add_f16_e32 v24, v42, v24
	v_bfi_b32 v40, 0xffff, v10, v48
	v_lshrrev_b32_e32 v42, 16, v8
	v_mul_f16_e32 v52, 0xbbb2, v47
	v_mul_f16_e32 v14, 0xbbb2, v43
	v_pk_add_f16 v10, v10, v12
	v_pk_add_f16 v12, v40, v13
	v_add_f16_e32 v33, v53, v33
	v_fmamk_f16 v13, v42, 0xb461, v52
	v_fma_f16 v53, v8, 0xb461, -v14
	v_pk_add_f16 v48, v48, v50
	v_mul_f16_e32 v40, 0x3836, v43
	v_fmac_f16_e32 v14, 0xb461, v8
	v_fma_f16 v50, v42, 0xb461, -v52
	v_add_f16_e32 v13, v13, v15
	v_mul_f16_e32 v15, 0x3836, v47
	v_fma_f16 v52, v8, 0xbacd, -v40
	v_add_f16_e32 v14, v14, v16
	v_add_f16_e32 v16, v50, v20
	v_mul_f16_e32 v20, 0x3964, v43
	v_fmamk_f16 v50, v42, 0xbacd, v15
	v_fma_f16 v15, v42, 0xbacd, -v15
	v_add_f16_e32 v49, v52, v49
	v_fmac_f16_e32 v40, 0xbacd, v8
	v_fma_f16 v52, v8, 0x39e9, -v20
	v_add_f16_e32 v39, v50, v39
	v_mul_f16_e32 v50, 0x3964, v47
	v_add_f16_e32 v15, v15, v25
	v_mul_f16_e32 v25, 0xbb29, v43
	v_add_f16_e32 v27, v53, v27
	v_add_f16_e32 v35, v40, v35
	;; [unrolled: 1-line block ×3, first 2 shown]
	v_fmamk_f16 v40, v42, 0x39e9, v50
	v_fmac_f16_e32 v20, 0x39e9, v8
	v_fma_f16 v50, v42, 0x39e9, -v50
	v_mul_f16_e32 v52, 0xbb29, v47
	v_fma_f16 v53, v8, 0x3722, -v25
	v_add_f16_e32 v38, v40, v38
	v_add_f16_e32 v20, v20, v23
	;; [unrolled: 1-line block ×3, first 2 shown]
	v_fmamk_f16 v28, v42, 0x3722, v52
	v_add_f16_e32 v40, v53, v41
	v_mul_f16_e32 v41, 0xb1e1, v43
	v_fmac_f16_e32 v25, 0x3722, v8
	v_fma_f16 v50, v42, 0x3722, -v52
	v_add_f16_e32 v28, v28, v30
	v_mul_f16_e32 v30, 0xb1e1, v47
	v_fma_f16 v52, v8, 0xbbdd, -v41
	v_add_f16_e32 v25, v25, v26
	v_add_f16_e32 v26, v50, v29
	v_mul_f16_e32 v29, 0x3bf7, v43
	v_fmamk_f16 v50, v42, 0xbbdd, v30
	v_add_f16_e32 v51, v52, v51
	v_fmac_f16_e32 v41, 0xbbdd, v8
	v_fma_f16 v30, v42, 0xbbdd, -v30
	v_fma_f16 v52, v8, 0x2de8, -v29
	v_add_f16_e32 v45, v50, v45
	v_mul_f16_e32 v50, 0x3bf7, v47
	v_add_f16_e32 v41, v41, v44
	v_add_f16_e32 v30, v30, v32
	;; [unrolled: 1-line block ×3, first 2 shown]
	v_mul_f16_e32 v36, 0xb5c8, v43
	v_fmac_f16_e32 v29, 0x2de8, v8
	v_mul_f16_e32 v44, 0xb5c8, v47
	v_fmamk_f16 v43, v42, 0x2de8, v50
	v_pk_mul_f16 v47, 0xba62, v47 op_sel_hi:[0,1]
	v_fma_f16 v52, v8, 0x3b76, -v36
	v_add_f16_e32 v29, v29, v31
	v_fmamk_f16 v31, v42, 0x3b76, v44
	v_add_f16_e32 v21, v43, v21
	v_fmac_f16_e32 v36, 0x3b76, v8
	v_add_f16_e32 v43, v52, v46
	v_pk_add_f16 v46, v7, v9 neg_lo:[0,1] neg_hi:[0,1]
	v_add_f16_e32 v31, v31, v37
	v_fma_f16 v37, v42, 0x3b76, -v44
	v_pk_fma_f16 v44, 0xb8d2, v8, v47 op_sel:[0,0,1] op_sel_hi:[0,1,0] neg_lo:[0,0,1] neg_hi:[0,0,1]
	v_pk_fma_f16 v8, 0xb8d2, v8, v47 op_sel:[0,0,1] op_sel_hi:[0,1,0]
	v_pk_add_f16 v7, v7, v9
	v_fma_f16 v50, v42, 0x2de8, -v50
	v_lshrrev_b32_e32 v42, 16, v46
	v_add_f16_e32 v9, v36, v11
	v_add_f16_e32 v24, v37, v24
	v_bfi_b32 v36, 0xffff, v8, v44
	v_lshrrev_b32_e32 v37, 16, v7
	v_mul_f16_e32 v47, 0xba62, v46
	v_mul_f16_e32 v11, 0xba62, v42
	v_pk_add_f16 v8, v8, v10
	v_pk_add_f16 v10, v36, v12
	v_add_f16_e32 v33, v50, v33
	v_fmamk_f16 v12, v37, 0xb8d2, v47
	v_fma_f16 v50, v7, 0xb8d2, -v11
	v_mul_f16_e32 v36, 0x3bb2, v42
	v_fmac_f16_e32 v11, 0xb8d2, v7
	v_fma_f16 v47, v37, 0xb8d2, -v47
	v_add_f16_e32 v12, v12, v13
	v_mul_f16_e32 v13, 0x3bb2, v46
	v_pk_add_f16 v44, v44, v48
	v_fma_f16 v48, v7, 0xb461, -v36
	v_add_f16_e32 v11, v11, v14
	v_add_f16_e32 v14, v47, v16
	v_mul_f16_e32 v16, 0xb5c8, v42
	v_fmamk_f16 v47, v37, 0xb461, v13
	v_add_f16_e32 v48, v48, v49
	v_fmac_f16_e32 v36, 0xb461, v7
	v_fma_f16 v13, v37, 0xb461, -v13
	v_fma_f16 v49, v7, 0x3b76, -v16
	v_add_f16_e32 v39, v47, v39
	v_mul_f16_e32 v47, 0xb5c8, v46
	v_add_f16_e32 v35, v36, v35
	v_add_f16_e32 v13, v13, v15
	;; [unrolled: 1-line block ×3, first 2 shown]
	v_mul_f16_e32 v22, 0xb836, v42
	v_fmamk_f16 v36, v37, 0x3b76, v47
	v_fmac_f16_e32 v16, 0x3b76, v7
	v_fma_f16 v47, v37, 0x3b76, -v47
	v_mul_f16_e32 v49, 0xb836, v46
	v_add_f16_e32 v27, v50, v27
	v_fma_f16 v50, v7, 0xbacd, -v22
	v_add_f16_e32 v16, v16, v20
	v_add_f16_e32 v20, v47, v23
	v_fmamk_f16 v23, v37, 0xbacd, v49
	v_fmac_f16_e32 v22, 0xbacd, v7
	v_fma_f16 v47, v37, 0xbacd, -v49
	v_add_f16_e32 v36, v36, v38
	v_add_f16_e32 v38, v50, v40
	;; [unrolled: 1-line block ×3, first 2 shown]
	v_mul_f16_e32 v28, 0x3bf7, v46
	v_add_f16_e32 v22, v22, v25
	v_add_f16_e32 v25, v47, v26
	v_mul_f16_e32 v26, 0xb964, v42
	v_mul_f16_e32 v40, 0x3bf7, v42
	v_fmamk_f16 v47, v37, 0x2de8, v28
	v_fma_f16 v28, v37, 0x2de8, -v28
	s_load_b64 s[6:7], s[6:7], 0x0
	v_fma_f16 v50, v7, 0x39e9, -v26
	v_fma_f16 v49, v7, 0x2de8, -v40
	v_fmac_f16_e32 v40, 0x2de8, v7
	v_add_f16_e32 v45, v47, v45
	v_mul_f16_e32 v47, 0xb964, v46
	v_add_f16_e32 v28, v28, v30
	v_add_f16_e32 v30, v50, v32
	v_mul_f16_e32 v32, 0xb1e1, v42
	v_add_f16_e32 v40, v40, v41
	v_fmamk_f16 v41, v37, 0x39e9, v47
	v_fmac_f16_e32 v26, 0x39e9, v7
	v_mul_f16_e32 v42, 0xb1e1, v46
	v_fma_f16 v50, v7, 0xbbdd, -v32
	v_fma_f16 v47, v37, 0x39e9, -v47
	v_add_f16_e32 v21, v41, v21
	v_add_f16_e32 v26, v26, v29
	v_fmamk_f16 v29, v37, 0xbbdd, v42
	v_add_f16_e32 v41, v50, v43
	v_pk_mul_f16 v43, 0x3b29, v46 op_sel_hi:[0,1]
	v_pk_add_f16 v46, v4, v5 neg_lo:[0,1] neg_hi:[0,1]
	v_fmac_f16_e32 v32, 0xbbdd, v7
	v_add_f16_e32 v29, v29, v31
	v_fma_f16 v31, v37, 0xbbdd, -v42
	v_pk_fma_f16 v37, 0x3722, v7, v43 op_sel:[0,0,1] op_sel_hi:[0,1,0] neg_lo:[0,0,1] neg_hi:[0,0,1]
	v_lshrrev_b32_e32 v42, 16, v46
	v_pk_fma_f16 v7, 0x3722, v7, v43 op_sel:[0,0,1] op_sel_hi:[0,1,0]
	v_pk_add_f16 v4, v4, v5
	v_add_f16_e32 v5, v32, v9
	v_add_f16_e32 v9, v31, v24
	v_mul_f16_e32 v24, 0xb836, v42
	v_bfi_b32 v31, 0xffff, v7, v37
	v_lshrrev_b32_e32 v32, 16, v4
	v_mul_f16_e32 v43, 0xb836, v46
	v_pk_add_f16 v37, v37, v44
	v_fma_f16 v44, v4, 0xbacd, -v24
	v_pk_add_f16 v7, v7, v8
	v_pk_add_f16 v8, v31, v10
	v_fmamk_f16 v10, v32, 0xbacd, v43
	v_mul_f16_e32 v31, 0x3b29, v42
	v_fmac_f16_e32 v24, 0xbacd, v4
	v_add_f16_e32 v27, v44, v27
	v_fma_f16 v43, v32, 0xbacd, -v43
	v_add_f16_e32 v10, v10, v12
	v_fma_f16 v12, v4, 0x3722, -v31
	v_mul_f16_e32 v44, 0x3b29, v46
	v_add_f16_e32 v11, v24, v11
	v_mul_f16_e32 v24, 0xbbf7, v42
	v_add_f16_e32 v33, v47, v33
	v_add_f16_e32 v14, v43, v14
	;; [unrolled: 1-line block ×3, first 2 shown]
	v_fmamk_f16 v43, v32, 0x3722, v44
	v_fma_f16 v44, v32, 0x3722, -v44
	v_fma_f16 v47, v4, 0x2de8, -v24
	v_mul_f16_e32 v48, 0xbbf7, v46
	v_fmac_f16_e32 v31, 0x3722, v4
	v_fmac_f16_e32 v24, 0x2de8, v4
	v_add_f16_e32 v13, v44, v13
	v_add_f16_e32 v15, v47, v15
	v_fma_f16 v44, v32, 0x2de8, -v48
	v_mul_f16_e32 v47, 0x3a62, v46
	v_add_f16_e32 v39, v43, v39
	v_add_f16_e32 v31, v31, v35
	v_fmamk_f16 v35, v32, 0x2de8, v48
	v_mul_f16_e32 v43, 0x3a62, v42
	v_add_f16_e32 v16, v24, v16
	v_add_f16_e32 v20, v44, v20
	v_fmamk_f16 v24, v32, 0xb8d2, v47
	v_mul_f16_e32 v44, 0xb5c8, v42
	v_add_f16_e32 v49, v49, v51
	v_add_f16_e32 v35, v35, v36
	v_fma_f16 v36, v4, 0xb8d2, -v43
	v_add_f16_e32 v23, v24, v23
	v_fma_f16 v24, v4, 0x3b76, -v44
	v_fmac_f16_e32 v43, 0xb8d2, v4
	v_fmac_f16_e32 v44, 0x3b76, v4
	v_add_f16_e32 v36, v36, v38
	v_fma_f16 v38, v32, 0xb8d2, -v47
	v_mul_f16_e32 v47, 0xb5c8, v46
	v_add_f16_e32 v24, v24, v49
	v_mul_f16_e32 v49, 0xb1e1, v46
	v_add_f16_e32 v22, v43, v22
	v_add_f16_e32 v25, v38, v25
	v_mul_f16_e32 v38, 0xb1e1, v42
	v_fmamk_f16 v43, v32, 0x3b76, v47
	v_fma_f16 v47, v32, 0x3b76, -v47
	v_add_f16_e32 v40, v44, v40
	v_fmamk_f16 v44, v32, 0xbbdd, v49
	v_mul_f16_e32 v42, 0x3964, v42
	v_fma_f16 v48, v4, 0xbbdd, -v38
	v_add_f16_e32 v43, v43, v45
	v_add_f16_e32 v28, v47, v28
	v_fmac_f16_e32 v38, 0xbbdd, v4
	v_mul_f16_e32 v45, 0x3964, v46
	v_fma_f16 v47, v32, 0xbbdd, -v49
	v_add_f16_e32 v21, v44, v21
	v_fma_f16 v44, v4, 0x39e9, -v42
	v_add_f16_e32 v26, v38, v26
	v_fmamk_f16 v38, v32, 0x39e9, v45
	v_add_f16_e32 v33, v47, v33
	v_pk_add_f16 v47, v3, v2 neg_lo:[0,1] neg_hi:[0,1]
	v_add_f16_e32 v41, v44, v41
	v_pk_mul_f16 v44, 0xbbb2, v46 op_sel_hi:[0,1]
	v_add_f16_e32 v29, v38, v29
	v_fmac_f16_e32 v42, 0x39e9, v4
	v_lshrrev_b32_e32 v38, 16, v47
	v_fma_f16 v32, v32, 0x39e9, -v45
	v_pk_fma_f16 v45, 0xb461, v4, v44 op_sel:[0,0,1] op_sel_hi:[0,1,0] neg_lo:[0,0,1] neg_hi:[0,0,1]
	v_pk_fma_f16 v4, 0xb461, v4, v44 op_sel:[0,0,1] op_sel_hi:[0,1,0]
	v_pk_add_f16 v2, v3, v2
	v_mul_f16_e32 v3, 0xb1e1, v38
	v_add_f16_e32 v9, v32, v9
	v_pk_add_f16 v32, v45, v37
	v_bfi_b32 v37, 0xffff, v4, v45
	v_add_f16_e32 v5, v42, v5
	v_fma_f16 v42, v2, 0xbbdd, -v3
	v_lshrrev_b32_e32 v44, 16, v2
	v_mul_f16_e32 v45, 0xb1e1, v47
	v_pk_add_f16 v4, v4, v7
	v_pk_add_f16 v7, v37, v8
	v_mul_f16_e32 v8, 0x35c8, v38
	v_add_f16_e32 v27, v42, v27
	v_fmamk_f16 v37, v44, 0xbbdd, v45
	v_fmac_f16_e32 v3, 0xbbdd, v2
	v_fma_f16 v42, v44, 0xbbdd, -v45
	v_fma_f16 v45, v2, 0x3b76, -v8
	v_mul_f16_e32 v46, 0x35c8, v47
	v_add_f16_e32 v10, v37, v10
	v_add_f16_e32 v3, v3, v11
	;; [unrolled: 1-line block ×4, first 2 shown]
	v_fmamk_f16 v14, v44, 0x3b76, v46
	v_mul_f16_e32 v37, 0xb836, v38
	v_fmac_f16_e32 v8, 0x3b76, v2
	v_fma_f16 v42, v44, 0x3b76, -v46
	v_mul_f16_e32 v45, 0xb836, v47
	v_add_f16_e32 v14, v14, v39
	v_fma_f16 v39, v2, 0xbacd, -v37
	v_add_f16_e32 v8, v8, v31
	v_add_f16_e32 v13, v42, v13
	v_fmamk_f16 v31, v44, 0xbacd, v45
	v_mul_f16_e32 v42, 0x3964, v38
	v_fmac_f16_e32 v37, 0xbacd, v2
	v_add_f16_e32 v15, v39, v15
	v_fma_f16 v39, v44, 0xbacd, -v45
	v_add_f16_e32 v31, v31, v35
	v_fma_f16 v35, v2, 0x39e9, -v42
	v_mul_f16_e32 v45, 0x3964, v47
	v_add_f16_e32 v16, v37, v16
	v_mul_f16_e32 v37, 0xba62, v38
	v_add_f16_e32 v20, v39, v20
	v_add_f16_e32 v35, v35, v36
	v_fmamk_f16 v36, v44, 0x39e9, v45
	v_fma_f16 v39, v44, 0x39e9, -v45
	v_fma_f16 v45, v2, 0xb8d2, -v37
	v_mul_f16_e32 v46, 0xba62, v47
	v_fmac_f16_e32 v37, 0xb8d2, v2
	v_add_f16_e32 v23, v36, v23
	v_add_f16_e32 v25, v39, v25
	v_add_f16_e32 v24, v45, v24
	v_fmamk_f16 v36, v44, 0xb8d2, v46
	v_mul_f16_e32 v39, 0x3b29, v38
	v_mul_f16_e32 v45, 0x3b29, v47
	v_fmac_f16_e32 v42, 0x39e9, v2
	v_add_f16_e32 v30, v48, v30
	v_add_f16_e32 v36, v36, v43
	v_fma_f16 v43, v2, 0x3722, -v39
	v_add_f16_e32 v37, v37, v40
	v_fmamk_f16 v40, v44, 0x3722, v45
	v_mul_f16_e32 v38, 0xbbb2, v38
	v_add_f16_e32 v22, v42, v22
	v_fma_f16 v42, v44, 0xb8d2, -v46
	v_fmac_f16_e32 v39, 0x3722, v2
	v_add_f16_e32 v30, v43, v30
	v_add_f16_e32 v21, v40, v21
	v_fma_f16 v40, v2, 0xb461, -v38
	v_mul_f16_e32 v43, 0xbbb2, v47
	v_add_f16_e32 v28, v42, v28
	v_fma_f16 v42, v44, 0x3722, -v45
	v_add_f16_e32 v26, v39, v26
	v_pk_mul_f16 v39, 0x3bf7, v47 op_sel_hi:[0,1]
	v_add_f16_e32 v40, v40, v41
	v_fmamk_f16 v41, v44, 0xb461, v43
	v_add_f16_e32 v33, v42, v33
	v_fmac_f16_e32 v38, 0xb461, v2
	v_fma_f16 v42, v44, 0xb461, -v43
	v_pk_fma_f16 v43, 0x2de8, v2, v39 op_sel:[0,0,1] op_sel_hi:[0,1,0] neg_lo:[0,0,1] neg_hi:[0,0,1]
	v_pk_fma_f16 v2, 0x2de8, v2, v39 op_sel:[0,0,1] op_sel_hi:[0,1,0]
	v_add_f16_e32 v29, v41, v29
	v_add_f16_e32 v5, v38, v5
	;; [unrolled: 1-line block ×3, first 2 shown]
	v_pk_add_f16 v32, v43, v32
	v_pk_add_f16 v4, v2, v4
	v_bfi_b32 v2, 0xffff, v2, v43
	v_pack_b32_f16 v10, v27, v10
	v_pack_b32_f16 v12, v12, v14
	;; [unrolled: 1-line block ×7, first 2 shown]
	v_pk_add_f16 v2, v2, v7
	v_bfi_b32 v4, 0xffff, v32, v4
	ds_store_2addr_b32 v1, v6, v10 offset1:7
	ds_store_2addr_b32 v1, v12, v14 offset0:14 offset1:21
	ds_store_2addr_b32 v1, v15, v23 offset0:28 offset1:35
	;; [unrolled: 1-line block ×3, first 2 shown]
	v_pack_b32_f16 v5, v5, v9
	v_pack_b32_f16 v6, v26, v33
	;; [unrolled: 1-line block ×7, first 2 shown]
	ds_store_2addr_b32 v1, v4, v2 offset0:56 offset1:63
	ds_store_2addr_b32 v1, v5, v6 offset0:70 offset1:77
	ds_store_2addr_b32 v1, v7, v9 offset0:84 offset1:91
	ds_store_2addr_b32 v1, v10, v8 offset0:98 offset1:105
	ds_store_b32 v1, v3 offset:448
	global_wb scope:SCOPE_SE
	s_wait_dscnt 0x0
	s_wait_kmcnt 0x0
	s_barrier_signal -1
	s_barrier_wait -1
	global_inv scope:SCOPE_SE
	s_and_saveexec_b32 s8, s9
	s_cbranch_execz .LBB0_51
; %bb.50:
	v_mul_hi_u32 v1, 0xf0f0f10, v19
	v_mul_lo_u32 v37, 0xffffffef, v17
	s_add_co_i32 s8, 0, 0x1f9c
	v_mul_hi_u32 v0, 0x226b903, v0
	s_mul_u64 s[6:7], s[6:7], s[18:19]
	s_delay_alu instid0(VALU_DEP_3) | instskip(NEXT) | instid1(VALU_DEP_1)
	v_mul_u32_u24_e32 v1, 17, v1
	v_sub_nc_u32_e32 v35, v19, v1
	v_mul_u32_u24_e32 v19, 28, v19
	s_delay_alu instid0(VALU_DEP_2) | instskip(NEXT) | instid1(VALU_DEP_2)
	v_lshlrev_b32_e32 v13, 6, v35
	v_add3_u32 v36, 0, v19, v18
	s_clause 0x3
	global_load_b128 v[1:4], v13, s[20:21] offset:16
	global_load_b128 v[5:8], v13, s[20:21] offset:32
	global_load_b128 v[9:12], v13, s[20:21]
	global_load_b128 v[13:16], v13, s[20:21] offset:48
	v_add_nc_u32_e32 v20, 0xe00, v36
	v_add_nc_u32_e32 v21, 0xa00, v36
	v_add_nc_u32_e32 v22, 0x1200, v36
	ds_load_2addr_b32 v[18:19], v36 offset1:119
	ds_load_b32 v55, v36 offset:7616
	ds_load_2addr_b32 v[32:33], v20 offset0:56 offset1:175
	ds_load_2addr_b32 v[30:31], v21 offset0:74 offset1:193
	ds_load_2addr_b32 v[28:29], v22 offset0:38 offset1:157
	v_add_nc_u32_e32 v20, 0x110, v35
	v_add_nc_u32_e32 v23, 0x600, v36
	;; [unrolled: 1-line block ×5, first 2 shown]
	v_mul_lo_u32 v38, v20, v17
	ds_load_2addr_b32 v[24:25], v23 offset0:92 offset1:211
	ds_load_2addr_b32 v[26:27], v26 offset0:20 offset1:139
	ds_load_2addr_b32 v[20:21], v21 offset0:130 offset1:249
	ds_load_2addr_b32 v[22:23], v22 offset0:110 offset1:229
	ds_load_u16 v58, v36 offset:1430
	v_mul_lo_u32 v17, v35, v17
	v_lshrrev_b32_e32 v39, 10, v38
	v_and_b32_e32 v40, 63, v38
	v_lshrrev_b32_e32 v41, 4, v38
	v_add_nc_u32_e32 v38, v38, v37
	s_wait_dscnt 0x9
	v_lshrrev_b32_e32 v56, 16, v19
	v_and_b32_e32 v39, 0xfc, v39
	v_lshl_add_u32 v40, v40, 2, 0
	v_and_b32_e32 v41, 0xfc, v41
	v_lshrrev_b32_e32 v42, 10, v38
	v_and_b32_e32 v43, 63, v38
	v_lshrrev_b32_e32 v44, 4, v38
	v_add_nc_u32_e32 v38, v38, v37
	s_wait_alu 0xfffe
	v_add_nc_u32_e32 v41, s8, v41
	ds_load_b32 v40, v40 offset:8092
	ds_load_b32 v41, v41 offset:256
	v_lshrrev_b32_e32 v47, 4, v38
	v_lshrrev_b32_e32 v45, 10, v38
	v_and_b32_e32 v46, 63, v38
	v_add_nc_u32_e32 v38, v38, v37
	v_and_b32_e32 v44, 0xfc, v44
	v_and_b32_e32 v47, 0xfc, v47
	;; [unrolled: 1-line block ×4, first 2 shown]
	v_lshrrev_b32_e32 v48, 10, v38
	v_and_b32_e32 v49, 63, v38
	v_lshrrev_b32_e32 v50, 4, v38
	v_add_nc_u32_e32 v38, v38, v37
	v_lshl_add_u32 v43, v43, 2, 0
	v_add_nc_u32_e32 v44, s8, v44
	v_add_nc_u32_e32 v47, s8, v47
	v_lshl_add_u32 v46, v46, 2, 0
	v_and_b32_e32 v48, 0xfc, v48
	v_add_nc_u32_e32 v110, v38, v37
	v_add_nc_u32_e32 v45, s8, v45
	;; [unrolled: 1-line block ×4, first 2 shown]
	v_lshrrev_b32_e32 v51, 10, v38
	v_and_b32_e32 v52, 63, v38
	v_lshrrev_b32_e32 v53, 4, v38
	ds_load_b32 v38, v43 offset:8092
	ds_load_b32 v43, v44 offset:256
	;; [unrolled: 1-line block ×7, first 2 shown]
	v_add_nc_u32_e32 v46, s8, v48
	v_lshrrev_b32_e32 v48, 10, v110
	v_and_b32_e32 v53, 0xfc, v53
	v_and_b32_e32 v50, 0xfc, v50
	;; [unrolled: 1-line block ×3, first 2 shown]
	v_lshl_add_u32 v49, v49, 2, 0
	v_and_b32_e32 v48, 0xfc, v48
	s_wait_dscnt 0x8
	v_lshrrev_b32_e32 v54, 16, v40
	v_add_nc_u32_e32 v53, s8, v53
	s_wait_dscnt 0x7
	v_lshrrev_b32_e32 v72, 16, v41
	v_add_nc_u32_e32 v50, s8, v50
	v_add_nc_u32_e32 v48, s8, v48
	v_lshl_add_u32 v52, v52, 2, 0
	v_add_nc_u32_e32 v51, s8, v51
	ds_load_b32 v49, v49 offset:8092
	ds_load_b32 v50, v50 offset:256
	s_wait_dscnt 0x8
	v_lshrrev_b32_e32 v73, 16, v38
	ds_load_b32 v113, v53 offset:256
	ds_load_b32 v112, v48 offset:512
	;; [unrolled: 1-line block ×5, first 2 shown]
	v_mul_f16_e32 v46, v54, v72
	v_mul_f16_e32 v48, v40, v72
	s_wait_dscnt 0xc
	v_lshrrev_b32_e32 v51, 16, v43
	s_wait_dscnt 0x8
	v_lshrrev_b32_e32 v53, 16, v39
	v_lshrrev_b32_e32 v52, 16, v44
	v_fma_f16 v40, v40, v41, -v46
	v_fmac_f16_e32 v48, v54, v41
	v_mul_f16_e32 v41, v73, v51
	v_mul_f16_e32 v46, v38, v51
	s_wait_dscnt 0x7
	v_lshrrev_b32_e32 v54, 16, v47
	v_lshrrev_b32_e32 v72, 16, v42
	v_mul_f16_e32 v75, v48, v53
	v_mul_f16_e32 v118, v40, v53
	v_fma_f16 v38, v38, v43, -v41
	v_fmac_f16_e32 v46, v73, v43
	v_mul_f16_e32 v43, v44, v54
	v_lshrrev_b32_e32 v51, 16, v45
	v_mul_f16_e32 v41, v52, v54
	v_fma_f16 v121, v39, v40, -v75
	v_fmac_f16_e32 v118, v39, v48
	v_mul_f16_e32 v39, v46, v72
	v_fmac_f16_e32 v43, v52, v47
	s_wait_dscnt 0x6
	v_lshrrev_b32_e32 v74, 16, v49
	s_wait_dscnt 0x5
	v_lshrrev_b32_e32 v53, 16, v50
	v_mul_f16_e32 v122, v38, v72
	v_fma_f16 v40, v44, v47, -v41
	v_fma_f16 v123, v42, v38, -v39
	v_mul_f16_e32 v38, v43, v51
	v_lshrrev_b32_e32 v64, 16, v25
	v_lshrrev_b32_e32 v62, 16, v24
	;; [unrolled: 1-line block ×3, first 2 shown]
	v_mul_f16_e32 v41, v74, v53
	v_mul_f16_e64 v134, v49, v53
	v_mul_f16_e32 v124, v40, v51
	v_fma_f16 v125, v45, v40, -v38
	v_lshrrev_b32_e32 v57, 16, v55
	v_lshrrev_b32_e32 v66, 16, v32
	;; [unrolled: 1-line block ×10, first 2 shown]
	v_fmac_f16_e32 v122, v42, v46
	v_fma_f16 v135, v49, v50, -v41
	v_fmac_f16_e64 v134, v74, v50
	v_fmac_f16_e32 v124, v45, v43
	v_lshrrev_b32_e32 v60, 16, v21
	v_lshrrev_b32_e32 v36, 16, v18
	s_wait_dscnt 0x3
	v_lshrrev_b32_e32 v186, 16, v112
	s_wait_loadcnt 0x3
	v_lshrrev_b32_e32 v38, 16, v1
	v_lshrrev_b32_e32 v39, 16, v2
	s_wait_loadcnt 0x1
	v_lshrrev_b32_e32 v72, 16, v9
	v_lshrrev_b32_e32 v54, 16, v10
	;; [unrolled: 1-line block ×4, first 2 shown]
	s_wait_loadcnt 0x0
	v_lshrrev_b32_e32 v76, 16, v16
	v_lshrrev_b32_e32 v40, 16, v3
	;; [unrolled: 1-line block ×10, first 2 shown]
	v_mul_f16_e32 v49, v25, v38
	v_mul_f16_e32 v83, v64, v38
	;; [unrolled: 1-line block ×31, first 2 shown]
	v_fmac_f16_e32 v54, v9, v56
	v_fmac_f16_e32 v38, v57, v16
	v_mul_f16_e32 v75, v60, v75
	v_fma_f16 v50, v32, v4, -v77
	v_fma_f16 v32, v33, v5, -v78
	;; [unrolled: 1-line block ×5, first 2 shown]
	v_fmac_f16_e32 v42, v65, v8
	v_fma_f16 v29, v25, v1, -v83
	v_fma_f16 v25, v26, v8, -v84
	v_fmac_f16_e32 v51, v62, v12
	v_fmac_f16_e32 v44, v63, v13
	v_fma_f16 v24, v24, v12, -v85
	v_fma_f16 v12, v27, v13, -v73
	v_fmac_f16_e32 v52, v58, v11
	;; [unrolled: 4-line block ×3, first 2 shown]
	v_fmac_f16_e32 v39, v60, v15
	v_fma_f16 v14, v9, v19, -v72
	v_fma_f16 v8, v55, v16, -v76
	v_add_f16_e64 v163, v54, v38
	v_sub_f16_e64 v158, v54, v38
	v_fmac_f16_e32 v43, v67, v5
	v_fmac_f16_e32 v40, v71, v7
	v_fma_f16 v10, v10, v22, -v87
	v_fma_f16 v7, v21, v15, -v75
	v_add_f16_e64 v155, v53, v39
	v_sub_f16_e32 v67, v14, v8
	v_sub_f16_e64 v156, v53, v39
	v_add_f16_e32 v55, v14, v8
	v_mul_f16_e64 v77, 0x3b76, v163
	v_mul_f16_e64 v65, 0xb5c8, v158
	;; [unrolled: 1-line block ×4, first 2 shown]
	v_fmac_f16_e32 v46, v66, v4
	v_fmac_f16_e32 v48, v70, v2
	;; [unrolled: 1-line block ×3, first 2 shown]
	v_add_f16_e64 v153, v52, v45
	v_sub_f16_e32 v66, v10, v7
	v_sub_f16_e64 v154, v52, v45
	v_add_f16_e32 v20, v10, v7
	v_mul_f16_e64 v76, 0x39e9, v155
	v_mul_f16_e64 v59, 0xb964, v156
	;; [unrolled: 1-line block ×6, first 2 shown]
	v_fmamk_f16 v1, v67, 0x35c8, v77
	v_fmamk_f16 v2, v55, 0x3b76, v65
	v_fma_f16 v137, 0x3964, v67, v87
	v_fma_f16 v139, 0x39e9, v55, v93
	v_fma_f16 v31, v31, v3, -v79
	v_fmac_f16_e32 v47, v68, v3
	v_add_f16_e64 v149, v51, v44
	v_sub_f16_e32 v64, v13, v11
	v_sub_f16_e64 v150, v51, v44
	v_add_f16_e32 v19, v13, v11
	v_mul_f16_e64 v75, 0x3722, v153
	v_mul_f16_e64 v58, 0xbb29, v154
	v_mul_f16_e64 v89, 0xb8d2, v153
	v_mul_f16_e64 v91, 0xba62, v154
	v_mul_f16_e64 v103, 0xb8d2, v155
	v_mul_f16_e64 v108, 0xba62, v156
	v_fmamk_f16 v3, v66, 0x3964, v76
	v_fmamk_f16 v4, v20, 0x39e9, v59
	v_fma_f16 v138, 0x3bf7, v66, v86
	v_fma_f16 v140, 0x2de8, v20, v92
	;; [unrolled: 1-line block ×4, first 2 shown]
	v_add_f16_e32 v1, v1, v36
	v_add_f16_e32 v2, v2, v18
	v_add_f16_e64 v137, v137, v36
	v_add_f16_e64 v139, v139, v18
	v_fmac_f16_e32 v41, v69, v6
	v_add_f16_e32 v120, v49, v42
	v_sub_f16_e32 v63, v24, v12
	v_sub_f16_e64 v148, v49, v42
	v_add_f16_e32 v16, v24, v12
	v_mul_f16_e64 v73, 0x2de8, v149
	v_mul_f16_e64 v57, 0xbbf7, v150
	;; [unrolled: 1-line block ×6, first 2 shown]
	v_fmamk_f16 v5, v64, 0x3b29, v75
	v_fmamk_f16 v6, v19, 0x3722, v58
	v_fma_f16 v141, 0x3a62, v64, v89
	v_fma_f16 v142, 0xb8d2, v19, v91
	v_fma_f16 v168, 0x3a62, v66, v103
	v_fma_f16 v170, 0xb8d2, v20, v108
	v_add_f16_e64 v167, v167, v36
	v_add_f16_e64 v169, v169, v18
	v_add_f16_e32 v1, v3, v1
	v_add_f16_e32 v2, v4, v2
	v_add_f16_e64 v3, v138, v137
	v_add_f16_e64 v4, v140, v139
	v_add_f16_e32 v119, v48, v40
	v_sub_f16_e32 v62, v29, v25
	v_add_f16_e32 v15, v29, v25
	v_sub_f16_e64 v157, v48, v40
	v_mul_f16_e32 v74, 0xb461, v120
	v_mul_f16_e64 v56, 0xbbb2, v148
	v_mul_f16_e32 v82, 0xbacd, v120
	v_mul_f16_e64 v85, 0x3836, v148
	v_mul_f16_e64 v98, 0xb461, v149
	;; [unrolled: 1-line block ×3, first 2 shown]
	v_fmamk_f16 v9, v63, 0x3bf7, v73
	v_fmamk_f16 v126, v16, 0x2de8, v57
	v_fma_f16 v143, 0x31e1, v63, v88
	v_fma_f16 v144, 0xbbdd, v16, v90
	;; [unrolled: 1-line block ×4, first 2 shown]
	v_add_f16_e64 v137, v168, v167
	v_add_f16_e64 v138, v170, v169
	v_add_f16_e32 v1, v5, v1
	v_add_f16_e32 v2, v6, v2
	v_add_f16_e64 v3, v141, v3
	v_add_f16_e64 v4, v142, v4
	v_sub_f16_e32 v61, v33, v28
	v_add_f16_e32 v27, v33, v28
	v_add_f16_e64 v160, v47, v41
	v_sub_f16_e64 v162, v47, v41
	v_mul_f16_e32 v72, 0xb8d2, v119
	v_mul_f16_e64 v60, 0xba62, v157
	v_mul_f16_e32 v80, 0xb461, v119
	v_mul_f16_e64 v84, 0x3bb2, v157
	;; [unrolled: 2-line block ×3, first 2 shown]
	v_fmamk_f16 v127, v62, 0x3bb2, v74
	v_fma_f16 v128, 0xb461, v15, v56
	v_fma_f16 v145, 0xb836, v62, v82
	;; [unrolled: 1-line block ×5, first 2 shown]
	v_add_f16_e64 v5, v171, v137
	v_add_f16_e64 v6, v172, v138
	v_add_f16_e32 v1, v9, v1
	v_add_f16_e32 v2, v126, v2
	v_add_f16_e64 v3, v143, v3
	v_add_f16_e64 v4, v144, v4
	v_sub_f16_e32 v68, v31, v30
	v_add_f16_e32 v22, v31, v30
	v_sub_f16_e64 v159, v46, v43
	v_add_f16_e64 v161, v46, v43
	v_mul_f16_e64 v71, 0xbacd, v160
	v_mul_f16_e64 v26, 0xb836, v162
	;; [unrolled: 1-line block ×4, first 2 shown]
	v_mul_f16_e32 v96, 0x3b76, v119
	v_mul_f16_e64 v101, 0xb5c8, v157
	v_fma_f16 v129, 0x3a62, v61, v72
	v_fma_f16 v130, 0xb8d2, v27, v60
	;; [unrolled: 1-line block ×6, first 2 shown]
	v_add_f16_e64 v5, v173, v5
	v_add_f16_e64 v6, v174, v6
	v_add_f16_e32 v1, v127, v1
	v_add_f16_e64 v2, v128, v2
	v_add_f16_e64 v3, v145, v3
	;; [unrolled: 1-line block ×3, first 2 shown]
	v_add_f16_e32 v21, v50, v32
	v_sub_f16_e32 v69, v50, v32
	v_mul_f16_e64 v23, 0xb1e1, v159
	v_mul_f16_e64 v70, 0xbbdd, v161
	;; [unrolled: 1-line block ×6, first 2 shown]
	v_fma_f16 v131, 0x3836, v68, v71
	v_fma_f16 v132, 0xbacd, v22, v26
	;; [unrolled: 1-line block ×6, first 2 shown]
	v_add_f16_e64 v5, v175, v5
	v_add_f16_e64 v6, v176, v6
	;; [unrolled: 1-line block ×6, first 2 shown]
	v_mul_f16_e64 v99, 0xb836, v159
	v_mul_f16_e64 v95, 0xbacd, v161
	v_fma_f16 v133, 0xbbdd, v21, v23
	v_fma_f16 v136, 0x31e1, v69, v70
	;; [unrolled: 1-line block ×6, first 2 shown]
	v_add_f16_e64 v5, v177, v5
	v_add_f16_e64 v6, v178, v6
	;; [unrolled: 1-line block ×6, first 2 shown]
	v_fma_f16 v181, 0xbacd, v21, v99
	v_fma_f16 v182, 0x3836, v69, v95
	v_add_f16_e64 v5, v179, v5
	v_add_f16_e64 v6, v180, v6
	;; [unrolled: 1-line block ×6, first 2 shown]
	v_mul_f16_e64 v117, 0xbbf7, v158
	v_add_f16_e64 v6, v181, v6
	v_add_f16_e64 v128, v182, v5
	v_mul_f16_e32 v1, v2, v118
	v_mul_f16_e32 v5, v9, v118
	;; [unrolled: 1-line block ×4, first 2 shown]
	v_mul_f16_e64 v116, 0x2de8, v163
	v_mul_f16_e32 v4, v6, v124
	v_mul_f16_e64 v122, v128, v124
	v_fmac_f16_e32 v1, v9, v121
	v_fma_f16 v2, v2, v121, -v5
	v_fmac_f16_e32 v3, v127, v123
	v_fma_f16 v5, v126, v123, -v118
	v_fmamk_f16 v9, v55, 0x2de8, v117
	v_mul_f16_e64 v123, 0xb1e1, v156
	v_fmac_f16_e64 v4, v128, v125
	v_fma_f16 v6, v6, v125, -v122
	v_fmamk_f16 v118, v67, 0x3bf7, v116
	v_mul_f16_e64 v121, 0xbbdd, v155
	v_add_f16_e32 v9, v9, v18
	v_fmamk_f16 v125, v20, 0xbbdd, v123
	v_mul_f16_e64 v122, 0x3bb2, v154
	v_add_f16_e32 v118, v118, v36
	;; [unrolled: 3-line block ×4, first 2 shown]
	v_fma_f16 v128, 0xbbb2, v64, v124
	v_mul_f16_e64 v126, 0x3b76, v149
	v_add_f16_e32 v9, v127, v9
	v_fma_f16 v129, 0x3b76, v16, v125
	v_mul_f16_e64 v127, 0xbb29, v148
	v_add_f16_e64 v118, v128, v118
	v_fma_f16 v130, 0xb5c8, v63, v126
	v_mul_f16_e64 v128, 0x3722, v120
	v_add_f16_e64 v9, v129, v9
	;; [unrolled: 3-line block ×4, first 2 shown]
	v_fma_f16 v133, 0xbacd, v27, v129
	v_mul_f16_e64 v132, 0x3a62, v162
	s_wait_dscnt 0x0
	v_lshrrev_b32_e32 v136, 16, v115
	v_add_f16_e64 v118, v130, v118
	v_fma_f16 v137, 0x3836, v61, v131
	v_mul_f16_e64 v130, 0xb8d2, v160
	v_add_f16_e64 v9, v133, v9
	v_fma_f16 v138, 0xb8d2, v22, v132
	v_mul_f16_e64 v133, 0x3964, v159
	v_mul_f16_e64 v139, v135, v136
	v_add_f16_e64 v137, v137, v118
	v_fma_f16 v140, 0xba62, v68, v130
	v_add_f16_e64 v9, v138, v9
	v_fma_f16 v138, 0x39e9, v21, v133
	v_mul_f16_e64 v136, v134, v136
	v_fmac_f16_e64 v139, v115, v134
	v_add_f16_e64 v134, v140, v137
	v_lshrrev_b32_e32 v140, 16, v113
	v_add_f16_e64 v164, v138, v9
	v_lshrrev_b32_e32 v138, 16, v114
	v_fma_f16 v115, v115, v135, -v136
	v_mul_f16_e64 v118, 0x39e9, v161
	v_mul_f16_e64 v166, v114, v140
	;; [unrolled: 1-line block ×5, first 2 shown]
	v_fma_f16 v137, 0xb964, v69, v118
	v_fmac_f16_e64 v166, v138, v113
	v_fma_f16 v144, 0xbacd, v20, v142
	v_mul_f16_e64 v141, 0x3964, v154
	v_fma_f16 v138, 0xb461, v55, v140
	v_add_f16_e64 v165, v137, v134
	v_mul_f16_e64 v134, 0xb461, v163
	v_mul_f16_e64 v135, 0xbacd, v155
	v_fma_f16 v145, 0x39e9, v19, v141
	v_add_f16_e64 v143, v138, v18
	v_fma_f16 v114, v114, v113, -v136
	v_fma_f16 v137, 0x3bb2, v67, v134
	v_mul_f16_e64 v136, 0x39e9, v153
	v_lshrrev_b32_e32 v151, 4, v110
	v_add_f16_e64 v144, v144, v143
	v_mul_f16_e64 v143, 0xbb29, v150
	v_add_f16_e64 v113, v137, v36
	v_fma_f16 v137, 0xb836, v66, v135
	v_and_b32_e32 v170, 63, v110
	v_add_f16_e64 v145, v145, v144
	v_fma_f16 v147, 0x3722, v16, v143
	v_mul_f16_e64 v144, 0xb1e1, v148
	v_add_nc_u32_e32 v110, v110, v37
	v_mul_f16_e64 v9, v164, v139
	v_mul_f16_e64 v167, v165, v139
	v_add_f16_e64 v147, v147, v145
	v_fma_f16 v152, 0xbbdd, v15, v144
	v_mul_f16_e64 v145, 0x3bf7, v157
	v_add_f16_e64 v113, v137, v113
	v_fma_f16 v139, 0xb964, v64, v136
	v_mul_f16_e64 v137, 0x3722, v149
	v_add_f16_e64 v152, v152, v147
	v_fma_f16 v169, 0x2de8, v27, v145
	v_add_nc_u32_e32 v196, v110, v37
	v_add_f16_e64 v113, v139, v113
	v_fma_f16 v139, 0x3b29, v63, v137
	v_mul_f16_e64 v138, 0xbbdd, v120
	v_and_b32_e32 v151, 0xfc, v151
	v_add_f16_e64 v169, v169, v152
	v_lshl_add_u32 v152, v170, 2, 0
	v_lshrrev_b32_e32 v170, 4, v110
	v_lshrrev_b32_e32 v174, 4, v196
	;; [unrolled: 1-line block ×3, first 2 shown]
	v_and_b32_e32 v173, 63, v110
	v_lshrrev_b32_e32 v110, 10, v110
	v_add_f16_e64 v113, v139, v113
	v_fma_f16 v146, 0x31e1, v62, v138
	v_mul_f16_e64 v139, 0x2de8, v119
	v_add_nc_u32_e32 v151, s8, v151
	v_and_b32_e32 v170, 0xfc, v170
	v_and_b32_e32 v174, 0xfc, v174
	;; [unrolled: 1-line block ×5, first 2 shown]
	v_add_f16_e64 v113, v146, v113
	v_fma_f16 v146, 0xbbf7, v61, v139
	ds_load_b32 v180, v151 offset:256
	v_add_nc_u32_e32 v170, s8, v170
	v_add_nc_u32_e32 v174, s8, v174
	v_lshl_add_u32 v176, v176, 2, 0
	v_add_nc_u32_e32 v175, s8, v175
	v_lshl_add_u32 v173, v173, 2, 0
	ds_load_b32 v182, v170 offset:256
	v_add_nc_u32_e32 v110, s8, v110
	v_add_f16_e64 v113, v146, v113
	v_mul_f16_e64 v146, 0x3b76, v160
	v_mul_f16_e64 v147, 0xb5c8, v162
	ds_load_b32 v197, v174 offset:256
	ds_load_b32 v198, v176 offset:8092
	;; [unrolled: 1-line block ×6, first 2 shown]
	v_mul_f16_e64 v151, 0xba62, v159
	v_mul_f16_e64 v152, 0xb8d2, v161
	v_fma_f16 v171, 0x35c8, v68, v146
	v_fma_f16 v172, 0x3b76, v22, v147
	v_lshrrev_b32_e32 v168, 16, v111
	v_fmac_f16_e64 v9, v165, v115
	v_mul_f16_e64 v176, 0xb8d2, v163
	v_add_f16_e64 v110, v171, v113
	v_add_f16_e64 v113, v172, v169
	v_fma_f16 v169, 0xb8d2, v21, v151
	v_fma_f16 v171, 0x3a62, v69, v152
	v_mul_f16_e64 v170, v114, v168
	v_mul_f16_e64 v165, v166, v168
	v_mul_f16_e64 v178, 0xba62, v158
	v_add_f16_e64 v184, v169, v113
	v_add_f16_e64 v113, v171, v110
	v_fma_f16 v110, v164, v115, -v167
	s_wait_dscnt 0x7
	v_lshrrev_b32_e32 v164, 16, v180
	v_fmac_f16_e64 v170, v111, v166
	v_fma_f16 v114, v111, v114, -v165
	v_fma_f16 v165, 0x3a62, v67, v176
	v_mul_f16_e64 v175, 0xb461, v155
	s_wait_dscnt 0x0
	v_lshrrev_b32_e32 v166, 16, v181
	v_mul_f16_e64 v185, v181, v164
	v_fma_f16 v168, 0xb8d2, v55, v178
	v_mul_f16_e64 v179, 0x3bb2, v156
	v_add_f16_e64 v165, v165, v36
	v_fma_f16 v167, 0xbbb2, v66, v175
	v_mul_f16_e64 v173, 0x3b76, v153
	v_mul_f16_e64 v169, v166, v164
	v_fmac_f16_e64 v185, v166, v180
	v_add_f16_e64 v164, v168, v18
	v_fma_f16 v166, 0xb461, v20, v179
	v_mul_f16_e64 v177, 0xb5c8, v154
	v_mul_f16_e64 v111, v184, v170
	;; [unrolled: 1-line block ×3, first 2 shown]
	v_add_f16_e64 v165, v167, v165
	v_fma_f16 v168, 0x35c8, v64, v173
	v_mul_f16_e64 v167, 0xbacd, v149
	v_add_f16_e64 v164, v166, v164
	v_fma_f16 v170, 0x3b76, v19, v177
	v_mul_f16_e64 v174, 0xb836, v150
	;; [unrolled: 3-line block ×8, first 2 shown]
	v_fma_f16 v180, v181, v180, -v169
	v_add_f16_e64 v181, v187, v168
	v_fma_f16 v187, 0x31e1, v68, v164
	v_add_f16_e64 v188, v189, v188
	v_fma_f16 v189, 0xbbdd, v22, v170
	v_mul_f16_e64 v169, 0x3b29, v159
	v_mul_f16_e64 v168, 0x3722, v161
	v_add_f16_e64 v181, v187, v181
	v_mul_f16_e64 v190, v180, v186
	v_add_f16_e64 v187, v189, v188
	v_fma_f16 v188, 0x3722, v21, v169
	v_fma_f16 v189, 0xbb29, v69, v168
	v_fmac_f16_e32 v111, v113, v114
	v_mul_f16_e64 v113, v185, v186
	v_lshrrev_b32_e32 v186, 16, v183
	v_add_f16_e64 v201, v188, v187
	v_lshrrev_b32_e32 v187, 16, v182
	v_fmac_f16_e64 v190, v112, v185
	v_add_f16_e64 v185, v189, v181
	v_fma_f16 v202, v112, v180, -v113
	v_fma_f16 v112, v184, v114, -v115
	v_mul_f16_e64 v115, v186, v187
	v_mul_f16_e64 v181, 0xbacd, v163
	;; [unrolled: 1-line block ×5, first 2 shown]
	v_fma_f16 v115, v183, v182, -v115
	v_fma_f16 v180, 0x3836, v67, v181
	v_fmac_f16_e64 v203, v186, v182
	v_fma_f16 v182, 0xbacd, v55, v189
	v_mul_f16_e64 v195, 0x3b29, v156
	v_mul_f16_e64 v113, v201, v190
	v_add_f16_e64 v180, v180, v36
	v_fma_f16 v183, 0xbb29, v66, v187
	v_mul_f16_e64 v186, 0x2de8, v153
	v_add_f16_e64 v182, v182, v18
	v_fma_f16 v184, 0x3722, v20, v195
	v_mul_f16_e64 v194, 0xbbf7, v154
	v_mul_f16_e64 v114, v185, v190
	v_fmac_f16_e64 v113, v185, v202
	v_add_f16_e64 v180, v183, v180
	v_fma_f16 v183, 0x3bf7, v64, v186
	v_mul_f16_e64 v185, 0xb8d2, v149
	v_add_f16_e64 v182, v184, v182
	v_fma_f16 v188, 0x2de8, v19, v194
	v_mul_f16_e64 v193, 0x3a62, v150
	;; [unrolled: 3-line block ×8, first 2 shown]
	v_lshrrev_b32_e32 v206, 16, v200
	v_add_f16_e64 v204, v205, v204
	v_fma_f16 v205, 0xb964, v68, v180
	v_add_f16_e64 v207, v188, v182
	v_fma_f16 v208, 0x39e9, v22, v190
	v_mul_f16_e64 v188, 0xbbb2, v159
	v_mul_f16_e64 v182, 0xb461, v161
	;; [unrolled: 1-line block ×3, first 2 shown]
	v_add_f16_e64 v204, v205, v204
	v_add_f16_e64 v205, v208, v207
	v_fma_f16 v207, 0xb461, v21, v188
	v_fma_f16 v208, 0x3bb2, v69, v182
	v_mul_f16_e64 v206, v203, v206
	v_fmac_f16_e64 v209, v200, v203
	v_fma_f16 v114, v201, v202, -v114
	v_add_f16_e64 v203, v207, v205
	v_add_f16_e64 v204, v208, v204
	v_lshrrev_b32_e32 v205, 16, v198
	v_lshrrev_b32_e32 v207, 16, v197
	v_fma_f16 v200, v200, v115, -v206
	v_mul_f16_e64 v115, v203, v209
	v_mul_f16_e64 v201, v204, v209
	;; [unrolled: 1-line block ×5, first 2 shown]
	v_fmac_f16_e64 v115, v204, v200
	v_mul_f16_e64 v204, v198, v207
	v_mul_f16_e64 v155, 0x3b76, v155
	v_fma_f16 v198, v198, v197, -v202
	v_fma_f16 v202, 0x31e1, v67, v163
	v_mul_f16_e64 v156, 0x35c8, v156
	v_fmac_f16_e64 v204, v205, v197
	v_fma_f16 v197, 0xbbdd, v55, v158
	v_fma_f16 v205, 0xb5c8, v66, v155
	v_add_f16_e64 v202, v202, v36
	v_mul_f16_e64 v153, 0xbacd, v153
	v_fma_f16 v206, 0x3b76, v20, v156
	v_add_f16_e64 v197, v197, v18
	v_mul_f16_e64 v154, 0xb836, v154
	v_add_f16_e64 v202, v205, v202
	v_fma_f16 v205, 0x3836, v64, v153
	v_mul_f16_e64 v149, 0x39e9, v149
	v_add_f16_e64 v197, v206, v197
	v_fma_f16 v206, 0xbacd, v19, v154
	;; [unrolled: 3-line block ×4, first 2 shown]
	v_mul_f16_e64 v206, 0xba62, v148
	v_add_f16_e64 v148, v205, v202
	v_mul_f16_e64 v205, 0x3722, v119
	v_mul_f16_e64 v157, 0x3b29, v157
	v_add_f16_e64 v119, v197, v120
	v_fma_f16 v120, 0xb8d2, v15, v206
	v_fma_f16 v202, 0x3a62, v62, v207
	v_mul_f16_e64 v162, 0xbbb2, v162
	v_fma_f16 v197, 0xbb29, v61, v205
	v_mul_f16_e64 v160, 0xb461, v160
	v_add_f16_e32 v119, v120, v119
	v_fma_f16 v120, 0x3722, v27, v157
	v_add_f16_e64 v148, v202, v148
	v_lshrrev_b32_e32 v202, 16, v199
	v_mul_f16_e64 v159, 0x3bf7, v159
	v_mul_f16_e64 v161, 0x2de8, v161
	v_add_f16_e32 v119, v120, v119
	v_fma_f16 v120, 0xb461, v22, v162
	v_add_f16_e64 v148, v197, v148
	v_fma_f16 v197, 0x3bb2, v68, v160
	v_mul_f16_e64 v208, v198, v202
	v_mul_f16_e64 v202, v204, v202
	v_add_f16_e32 v119, v120, v119
	v_fma_f16 v120, 0x2de8, v21, v159
	v_add_f16_e64 v148, v197, v148
	v_fma_f16 v197, 0xbbf7, v69, v161
	v_add_nc_u32_e32 v196, v196, v37
	v_fmac_f16_e64 v208, v199, v204
	v_add_f16_e64 v204, v120, v119
	v_fma_f16 v119, v203, v200, -v201
	v_add_f16_e64 v148, v197, v148
	v_fma_f16 v197, v199, v198, -v202
	v_lshrrev_b32_e32 v198, 4, v196
	v_add_nc_u32_e32 v200, v196, v37
	v_mul_f16_e64 v120, v204, v208
	v_and_b32_e32 v201, 63, v196
	v_mul_f16_e64 v199, v148, v208
	v_and_b32_e32 v198, 0xfc, v198
	v_add_nc_u32_e32 v202, v200, v37
	v_fmac_f16_e64 v120, v148, v197
	v_lshl_add_u32 v148, v201, 2, 0
	v_lshrrev_b32_e32 v201, 4, v200
	v_add_nc_u32_e32 v198, s8, v198
	v_lshrrev_b32_e32 v203, 10, v202
	ds_load_b32 v208, v148 offset:8092
	ds_load_b32 v198, v198 offset:256
	v_lshrrev_b32_e32 v148, 10, v200
	v_lshrrev_b32_e32 v196, 10, v196
	v_and_b32_e32 v201, 0xfc, v201
	v_fma_f16 v158, v55, 0xbbdd, -v158
	v_and_b32_e32 v203, 0xfc, v203
	v_and_b32_e32 v209, 63, v202
	;; [unrolled: 1-line block ×4, first 2 shown]
	v_add_nc_u32_e32 v201, s8, v201
	v_fmac_f16_e64 v163, 0xb1e1, v67
	v_fma_f16 v156, v20, 0x3b76, -v156
	v_add_f16_e64 v158, v158, v18
	v_add_nc_u32_e32 v203, s8, v203
	v_lshl_add_u32 v209, v209, 2, 0
	v_add_nc_u32_e32 v148, s8, v148
	v_add_nc_u32_e32 v196, s8, v196
	ds_load_b32 v201, v201 offset:256
	ds_load_b32 v203, v203 offset:512
	;; [unrolled: 1-line block ×5, first 2 shown]
	v_fmac_f16_e64 v155, 0x35c8, v66
	v_add_f16_e64 v163, v163, v36
	v_add_f16_e64 v156, v156, v158
	v_fma_f16 v154, v19, 0xbacd, -v154
	v_and_b32_e32 v200, 63, v200
	v_fmac_f16_e64 v153, 0xb836, v64
	v_add_f16_e64 v155, v155, v163
	v_fma_f16 v150, v16, 0x39e9, -v150
	v_add_f16_e64 v154, v154, v156
	v_lshl_add_u32 v148, v200, 2, 0
	s_wait_dscnt 0x6
	v_lshrrev_b32_e32 v158, 16, v208
	s_wait_dscnt 0x5
	v_lshrrev_b32_e32 v163, 16, v198
	v_add_f16_e64 v153, v153, v155
	v_fmac_f16_e64 v149, 0x3964, v63
	v_add_f16_e64 v150, v150, v154
	v_fma_f16 v154, v15, 0xb8d2, -v206
	ds_load_b32 v200, v148 offset:8092
	v_mul_f16_e64 v155, v158, v163
	v_mul_f16_e64 v156, v208, v163
	v_add_f16_e64 v149, v149, v153
	v_fmac_f16_e64 v207, 0xba62, v62
	v_add_f16_e64 v150, v154, v150
	v_fma_f16 v154, v27, 0x3722, -v157
	v_fmac_f16_e64 v156, v158, v198
	s_wait_dscnt 0x1
	v_lshrrev_b32_e32 v153, 16, v196
	v_add_f16_e64 v149, v207, v149
	v_fmac_f16_e64 v205, 0x3b29, v61
	v_fma_f16 v155, v208, v198, -v155
	v_add_f16_e64 v150, v154, v150
	v_fma_f16 v154, v22, 0xb461, -v162
	v_mul_f16_e64 v157, v156, v153
	v_add_f16_e64 v149, v205, v149
	v_fmac_f16_e64 v160, 0xbbb2, v68
	v_mul_f16_e64 v153, v155, v153
	v_add_f16_e64 v150, v154, v150
	v_fma_f16 v154, v21, 0x2de8, -v159
	v_fmac_f16_e64 v161, 0x3bf7, v69
	v_add_f16_e64 v149, v160, v149
	v_fmac_f16_e64 v153, v196, v156
	v_fma_f16 v155, v196, v155, -v157
	v_add_f16_e64 v150, v154, v150
	s_wait_dscnt 0x0
	v_lshrrev_b32_e32 v159, 16, v200
	v_add_f16_e64 v156, v161, v149
	v_lshrrev_b32_e32 v160, 16, v201
	v_fma_f16 v154, v55, 0xbacd, -v189
	v_mul_f16_e64 v149, v150, v153
	v_fma_f16 v158, v20, 0x3722, -v195
	v_mul_f16_e64 v153, v156, v153
	v_fmac_f16_e64 v181, 0xb836, v67
	v_add_f16_e64 v154, v154, v18
	v_fmac_f16_e64 v149, v156, v155
	v_mul_f16_e64 v156, v159, v160
	v_mul_f16_e64 v160, v200, v160
	v_fma_f16 v150, v150, v155, -v153
	v_add_f16_e64 v154, v158, v154
	v_fma_f16 v158, v19, 0x2de8, -v194
	v_fma_f16 v156, v200, v201, -v156
	v_fmac_f16_e64 v160, v159, v201
	v_lshrrev_b32_e32 v159, 16, v210
	v_fmac_f16_e64 v187, 0x3b29, v66
	v_add_f16_e64 v154, v158, v154
	v_fma_f16 v158, v16, 0xb8d2, -v193
	v_add_f16_e64 v157, v181, v36
	v_mul_f16_e64 v155, v156, v159
	v_mul_f16_e64 v153, v160, v159
	v_fmac_f16_e64 v186, 0xbbf7, v64
	v_add_f16_e64 v154, v158, v154
	v_fma_f16 v158, v15, 0x3b76, -v192
	v_fmac_f16_e64 v155, v210, v160
	v_lshrrev_b32_e32 v160, 4, v202
	v_fma_f16 v156, v210, v156, -v153
	v_add_f16_e64 v157, v187, v157
	v_add_f16_e64 v154, v158, v154
	v_fma_f16 v158, v27, 0xbbdd, -v191
	v_and_b32_e32 v153, 0xfc, v160
	v_fmac_f16_e64 v185, 0x3a62, v63
	v_add_f16_e64 v157, v186, v157
	v_fma_f16 v162, v55, 0xb8d2, -v178
	v_add_f16_e64 v154, v158, v154
	v_add_nc_u32_e32 v153, s8, v153
	v_fma_f16 v158, v22, 0x39e9, -v190
	v_fma_f16 v163, v20, 0xb461, -v179
	v_add_f16_e64 v157, v185, v157
	v_fmac_f16_e64 v184, 0xb5c8, v62
	ds_load_b32 v179, v153 offset:256
	v_add_f16_e64 v154, v158, v154
	v_add_nc_u32_e32 v158, v202, v37
	v_fmac_f16_e64 v176, 0xba62, v67
	v_add_f16_e64 v162, v162, v18
	v_fma_f16 v159, v21, 0xb461, -v188
	v_add_f16_e64 v157, v184, v157
	v_lshrrev_b32_e32 v161, 10, v158
	v_fmac_f16_e64 v183, 0xb1e1, v61
	v_fmac_f16_e64 v175, 0x3bb2, v66
	v_add_f16_e64 v176, v176, v36
	v_add_f16_e64 v162, v163, v162
	v_fma_f16 v163, v19, 0x3b76, -v177
	v_add_f16_e64 v154, v159, v154
	v_and_b32_e32 v159, 0xfc, v161
	v_and_b32_e32 v160, 63, v158
	v_lshrrev_b32_e32 v161, 4, v158
	v_add_nc_u32_e32 v158, v158, v37
	v_add_f16_e64 v157, v183, v157
	v_fmac_f16_e64 v180, 0x3964, v68
	v_add_f16_e64 v175, v175, v176
	v_add_f16_e64 v162, v163, v162
	v_fmac_f16_e64 v173, 0xb5c8, v64
	v_fma_f16 v174, v16, 0xbacd, -v174
	v_add_nc_u32_e32 v177, v158, v37
	v_add_f16_e64 v157, v180, v157
	v_fmac_f16_e64 v167, 0xb836, v63
	v_add_f16_e64 v173, v173, v175
	v_lshrrev_b32_e32 v175, 16, v209
	s_wait_dscnt 0x0
	v_lshrrev_b32_e32 v180, 16, v179
	v_add_f16_e64 v162, v174, v162
	v_fma_f16 v172, v15, 0x2de8, -v172
	v_lshrrev_b32_e32 v178, 10, v158
	v_lshrrev_b32_e32 v163, 10, v177
	;; [unrolled: 1-line block ×3, first 2 shown]
	v_add_f16_e64 v167, v167, v173
	v_mul_f16_e64 v173, v175, v180
	v_fmac_f16_e64 v166, 0x3bf7, v62
	v_add_f16_e64 v162, v172, v162
	v_fma_f16 v171, v27, 0x39e9, -v171
	v_and_b32_e32 v161, 0xfc, v161
	v_and_b32_e32 v178, 0xfc, v178
	;; [unrolled: 1-line block ×4, first 2 shown]
	v_add_nc_u32_e32 v159, s8, v159
	v_and_b32_e32 v153, 0xfc, v176
	v_lshl_add_u32 v160, v160, 2, 0
	v_mul_f16_e64 v174, v209, v180
	v_fma_f16 v172, v209, v179, -v173
	v_add_f16_e64 v166, v166, v167
	v_fmac_f16_e64 v165, 0xb964, v61
	v_lshrrev_b32_e32 v167, 16, v203
	v_add_f16_e64 v162, v171, v162
	v_fma_f16 v170, v22, 0xbbdd, -v170
	v_fmac_f16_e64 v134, 0xbbb2, v67
	v_fma_f16 v140, v55, 0xb461, -v140
	v_add_nc_u32_e32 v161, s8, v161
	v_add_nc_u32_e32 v176, s8, v178
	v_lshl_add_u32 v158, v158, 2, 0
	v_add_nc_u32_e32 v163, s8, v163
	v_add_nc_u32_e32 v153, s8, v153
	ds_load_b32 v159, v159 offset:512
	ds_load_b32 v160, v160 offset:8092
	;; [unrolled: 1-line block ×7, first 2 shown]
	v_fmac_f16_e64 v182, 0xbbb2, v69
	v_fmac_f16_e64 v174, v175, v179
	v_add_f16_e64 v165, v165, v166
	v_fmac_f16_e64 v164, 0xb1e1, v68
	v_mul_f16_e64 v166, v172, v167
	v_add_f16_e64 v162, v170, v162
	v_fma_f16 v169, v21, 0x3722, -v169
	v_fmac_f16_e64 v135, 0x3836, v66
	v_add_f16_e64 v134, v134, v36
	v_fma_f16 v142, v20, 0xbacd, -v142
	v_add_f16_e64 v140, v140, v18
	v_fmac_f16_e32 v116, 0xbbf7, v67
	v_add_f16_e64 v157, v182, v157
	v_mul_f16_e64 v153, v154, v155
	v_mul_f16_e64 v167, v174, v167
	v_add_f16_e64 v164, v164, v165
	v_fmac_f16_e64 v168, 0x3b29, v69
	v_fmac_f16_e64 v166, v203, v174
	v_add_f16_e64 v162, v169, v162
	v_add_f16_e64 v135, v135, v134
	v_fmac_f16_e64 v136, 0x3964, v64
	v_add_f16_e64 v140, v142, v140
	v_fma_f16 v141, v19, 0x39e9, -v141
	v_fmac_f16_e32 v121, 0xb1e1, v66
	v_add_f16_e32 v116, v116, v36
	v_mul_f16_e64 v165, v157, v155
	v_fmac_f16_e64 v153, v157, v156
	v_add_f16_e64 v157, v168, v164
	v_fma_f16 v164, v203, v172, -v167
	v_mul_f16_e64 v155, v162, v166
	v_add_f16_e64 v135, v136, v135
	v_fmac_f16_e64 v137, 0xbb29, v63
	v_add_f16_e64 v136, v141, v140
	v_fma_f16 v140, v16, 0x3722, -v143
	v_add_f16_e32 v121, v121, v116
	v_fmac_f16_e32 v124, 0x3bb2, v64
	v_fma_f16 v154, v154, v156, -v165
	v_mul_f16_e64 v156, v157, v166
	v_fmac_f16_e64 v155, v157, v164
	s_wait_dscnt 0x5
	v_lshrrev_b32_e32 v157, 16, v160
	s_wait_dscnt 0x4
	v_lshrrev_b32_e32 v165, 16, v161
	v_add_f16_e64 v135, v137, v135
	v_add_f16_e64 v136, v140, v136
	v_fma_f16 v137, v15, 0xbbdd, -v144
	v_fma_f16 v117, v55, 0x2de8, -v117
	v_add_f16_e32 v121, v124, v121
	v_fmac_f16_e32 v126, 0x35c8, v63
	v_mul_f16_e64 v142, v157, v165
	v_mul_f16_e64 v141, v160, v165
	v_fmac_f16_e64 v138, 0xb1e1, v62
	v_add_f16_e64 v136, v137, v136
	v_fma_f16 v137, v27, 0x2de8, -v145
	v_fma_f16 v123, v20, 0xbbdd, -v123
	v_add_f16_e32 v117, v117, v18
	v_add_f16_e32 v121, v126, v121
	v_fmac_f16_e64 v128, 0xbb29, v62
	v_fma_f16 v142, v160, v161, -v142
	v_fmac_f16_e64 v141, v157, v161
	v_lshrrev_b32_e32 v140, 16, v159
	v_add_f16_e64 v135, v138, v135
	v_fmac_f16_e64 v139, 0x3bf7, v61
	v_add_f16_e64 v136, v137, v136
	v_fma_f16 v137, v22, 0x3b76, -v147
	v_add_f16_e32 v117, v123, v117
	v_fma_f16 v122, v19, 0xb461, -v122
	v_add_f16_e64 v121, v128, v121
	v_fmac_f16_e64 v131, 0xb836, v61
	v_mul_f16_e64 v138, v141, v140
	v_mul_f16_e64 v140, v142, v140
	v_add_f16_e64 v135, v139, v135
	v_fmac_f16_e64 v146, 0xb5c8, v68
	v_add_f16_e64 v136, v137, v136
	v_fma_f16 v137, v21, 0xb8d2, -v151
	v_add_f16_e32 v117, v122, v117
	v_fma_f16 v122, v16, 0x3b76, -v125
	s_wait_dscnt 0x2
	v_lshrrev_b32_e32 v124, 16, v158
	s_wait_dscnt 0x1
	v_lshrrev_b32_e32 v125, 16, v178
	v_add_f16_e64 v121, v131, v121
	v_fmac_f16_e64 v130, 0x3a62, v68
	v_fmac_f16_e64 v140, v159, v141
	v_add_f16_e64 v135, v146, v135
	v_add_f16_e64 v136, v137, v136
	v_fmac_f16_e64 v152, 0xba62, v69
	v_mul_f16_e32 v126, v124, v125
	v_mul_f16_e64 v125, v158, v125
	v_add_f16_e64 v121, v130, v121
	v_fmac_f16_e32 v118, 0x3964, v69
	v_fma_f16 v138, v159, v142, -v138
	v_add_f16_e64 v123, v152, v135
	v_mul_f16_e64 v116, v136, v140
	v_add_f16_e32 v117, v122, v117
	v_fma_f16 v122, v15, 0x3722, -v127
	v_lshrrev_b32_e32 v127, 16, v176
	v_fmac_f16_e64 v125, v124, v178
	v_add_f16_e32 v118, v118, v121
	v_lshrrev_b32_e32 v121, 4, v177
	v_add_f16_e32 v117, v122, v117
	v_fma_f16 v122, v27, 0xbacd, -v129
	v_fma_f16 v126, v158, v178, -v126
	v_mul_f16_e64 v128, v123, v140
	v_fmac_f16_e64 v116, v123, v138
	v_mul_f16_e32 v123, v125, v127
	v_and_b32_e32 v129, 63, v177
	v_and_b32_e32 v121, 0xfc, v121
	v_add_f16_e32 v117, v122, v117
	v_fma_f16 v122, v22, 0xb8d2, -v132
	v_mul_f16_e32 v124, v126, v127
	v_fma_f16 v123, v176, v126, -v123
	v_lshl_add_u32 v126, v129, 2, 0
	v_add_nc_u32_e32 v127, v177, v37
	v_add_nc_u32_e32 v121, s8, v121
	v_fmac_f16_e32 v105, 0xbb29, v67
	v_fmac_f16_e32 v87, 0xb964, v67
	;; [unrolled: 1-line block ×3, first 2 shown]
	v_add_f16_e32 v117, v122, v117
	v_fma_f16 v122, v21, 0x39e9, -v133
	ds_load_b32 v126, v126 offset:8092
	ds_load_b32 v121, v121 offset:256
	v_fma_f16 v109, v55, 0x3722, -v109
	v_add_nc_u32_e32 v37, v127, v37
	v_fmac_f16_e32 v103, 0xba62, v66
	v_add_f16_e32 v105, v105, v36
	v_fmac_f16_e32 v86, 0xbbf7, v66
	v_add_f16_e32 v87, v87, v36
	v_fmac_f16_e32 v76, 0xb964, v66
	v_add_f16_e32 v66, v77, v36
	v_add_f16_e32 v36, v54, v36
	v_add_f16_e32 v14, v14, v18
	;; [unrolled: 1-line block ×3, first 2 shown]
	v_fma_f16 v117, v136, v138, -v128
	v_lshrrev_b32_e32 v128, 4, v127
	v_fma_f16 v108, v20, 0xb8d2, -v108
	v_add_f16_e32 v109, v109, v18
	v_lshrrev_b32_e32 v129, 10, v37
	v_fma_f16 v93, v55, 0x39e9, -v93
	v_fma_f16 v54, v55, 0x3b76, -v65
	v_lshrrev_b32_e32 v130, 4, v37
	v_fmac_f16_e64 v124, v176, v125
	v_lshrrev_b32_e32 v125, 10, v127
	v_add_f16_e32 v36, v36, v53
	v_add_f16_e32 v10, v14, v10
	v_and_b32_e32 v128, 0xfc, v128
	v_add_f16_e32 v103, v103, v105
	v_fmac_f16_e32 v104, 0x31e1, v64
	v_add_f16_e32 v105, v108, v109
	v_fma_f16 v107, v19, 0xbbdd, -v107
	v_and_b32_e32 v129, 0xfc, v129
	v_fma_f16 v92, v20, 0x2de8, -v92
	v_add_f16_e32 v93, v93, v18
	v_fma_f16 v20, v20, 0x39e9, -v59
	v_add_f16_e32 v18, v54, v18
	v_and_b32_e32 v37, 63, v37
	v_and_b32_e32 v130, 0xfc, v130
	;; [unrolled: 1-line block ×4, first 2 shown]
	v_add_f16_e32 v36, v36, v52
	v_add_f16_e32 v10, v10, v13
	v_add_nc_u32_e32 v128, s8, v128
	v_add_f16_e32 v103, v104, v103
	v_fmac_f16_e32 v98, 0x3bb2, v63
	v_add_f16_e32 v104, v107, v105
	v_fma_f16 v105, v16, 0xb461, -v106
	v_add_nc_u32_e32 v129, s8, v129
	v_fma_f16 v14, v19, 0x3722, -v58
	v_add_f16_e32 v18, v20, v18
	v_lshl_add_u32 v37, v37, 2, 0
	v_add_nc_u32_e32 v108, s8, v130
	v_add_nc_u32_e32 v125, s8, v125
	v_lshl_add_u32 v127, v127, 2, 0
	v_fma_f16 v91, v19, 0xb8d2, -v91
	v_add_f16_e32 v19, v36, v51
	v_add_f16_e32 v10, v10, v24
	ds_load_b32 v106, v128 offset:256
	ds_load_b32 v107, v129 offset:512
	;; [unrolled: 1-line block ×6, first 2 shown]
	s_wait_dscnt 0x7
	v_lshrrev_b32_e32 v127, 16, v126
	s_wait_dscnt 0x6
	v_lshrrev_b32_e32 v128, 16, v121
	v_add_f16_e32 v98, v98, v103
	v_fmac_f16_e32 v97, 0x3964, v62
	v_add_f16_e32 v103, v105, v104
	v_fma_f16 v102, v15, 0x39e9, -v102
	v_fma_f16 v13, v16, 0x2de8, -v57
	v_add_f16_e32 v14, v14, v18
	v_fma_f16 v90, v16, 0xbbdd, -v90
	v_add_f16_e32 v16, v19, v49
	v_lshrrev_b32_e32 v18, 10, v17
	v_add_f16_e32 v10, v10, v29
	v_mul_f16_e64 v104, v127, v128
	v_add_f16_e32 v97, v97, v98
	v_fmac_f16_e32 v96, 0xb5c8, v61
	v_add_f16_e32 v98, v102, v103
	v_fma_f16 v101, v27, 0x3b76, -v101
	v_add_f16_e32 v13, v13, v14
	v_lshrrev_b32_e32 v14, 4, v17
	v_add_f16_e32 v16, v16, v48
	v_and_b32_e32 v18, 0xfc, v18
	v_add_f16_e32 v10, v10, v33
	v_mul_f16_e64 v105, v126, v128
	v_fma_f16 v102, v126, v121, -v104
	v_lshrrev_b32_e32 v103, 16, v163
	v_add_f16_e32 v96, v96, v97
	v_fmac_f16_e32 v94, 0xbbf7, v68
	v_add_f16_e32 v97, v101, v98
	v_fma_f16 v98, v22, 0x2de8, -v100
	v_and_b32_e32 v17, 63, v17
	v_and_b32_e32 v14, 0xfc, v14
	v_add_f16_e32 v92, v92, v93
	v_add_f16_e32 v16, v16, v47
	v_add_nc_u32_e32 v18, s8, v18
	v_add_f16_e32 v10, v10, v31
	v_fmac_f16_e32 v105, v127, v121
	v_mul_f16_e32 v101, v102, v103
	v_add_f16_e32 v94, v94, v96
	v_add_f16_e32 v96, v98, v97
	v_fma_f16 v97, v21, 0xbacd, -v99
	v_fmac_f16_e32 v95, 0xb836, v69
	v_lshl_add_u32 v17, v17, 2, 0
	v_add_nc_u32_e32 v14, s8, v14
	v_add_f16_e32 v91, v91, v92
	v_fma_f16 v85, v15, 0xbacd, -v85
	v_fma_f16 v15, v15, 0xb461, -v56
	v_add_f16_e32 v16, v16, v46
	ds_load_b32 v18, v18 offset:512
	ds_load_b32 v17, v17 offset:8092
	;; [unrolled: 1-line block ×3, first 2 shown]
	v_add_f16_e32 v10, v10, v50
	v_mul_f16_e32 v98, v118, v124
	v_mul_f16_e32 v99, v105, v103
	v_fmac_f16_e64 v101, v163, v105
	v_add_f16_e32 v96, v97, v96
	v_add_f16_e32 v94, v95, v94
	v_add_f16_e32 v86, v86, v87
	v_fmac_f16_e32 v89, 0xba62, v64
	v_add_f16_e32 v67, v90, v91
	v_fma_f16 v77, v27, 0xb461, -v84
	v_fma_f16 v27, v27, 0xb8d2, -v60
	v_add_f16_e32 v16, v16, v43
	v_add_f16_e32 v13, v15, v13
	;; [unrolled: 1-line block ×3, first 2 shown]
	v_fma_f16 v95, v122, v123, -v98
	v_fma_f16 v97, v163, v102, -v99
	v_mul_f16_e32 v98, v96, v101
	v_mul_f16_e32 v99, v94, v101
	s_wait_dscnt 0x4
	v_lshrrev_b32_e32 v101, 16, v109
	v_lshrrev_b32_e32 v102, 16, v106
	v_add_f16_e32 v86, v89, v86
	v_fmac_f16_e32 v88, 0xb1e1, v63
	v_add_f16_e32 v67, v85, v67
	v_fmac_f16_e32 v75, 0xbb29, v64
	v_add_f16_e32 v64, v76, v66
	v_fma_f16 v15, v22, 0xbacd, -v26
	v_add_f16_e32 v16, v16, v41
	v_add_f16_e32 v13, v27, v13
	;; [unrolled: 1-line block ×3, first 2 shown]
	v_fmac_f16_e32 v98, v94, v97
	v_mul_f16_e32 v94, v101, v102
	v_add_f16_e32 v86, v88, v86
	v_fmac_f16_e32 v82, 0x3836, v62
	v_add_f16_e32 v67, v77, v67
	v_fmac_f16_e32 v73, 0xbbf7, v63
	v_add_f16_e32 v63, v75, v64
	v_fma_f16 v64, v22, 0x3722, -v83
	v_fma_f16 v20, v21, 0xbbdd, -v23
	v_add_f16_e32 v16, v16, v40
	v_add_f16_e32 v13, v15, v13
	;; [unrolled: 1-line block ×3, first 2 shown]
	v_mul_f16_e32 v87, v109, v102
	v_fma_f16 v94, v109, v106, -v94
	s_wait_dscnt 0x3
	v_lshrrev_b32_e32 v89, 16, v125
	v_add_f16_e32 v82, v82, v86
	v_fmac_f16_e32 v80, 0x3bb2, v61
	v_fmac_f16_e32 v74, 0xbbb2, v62
	v_add_f16_e32 v62, v73, v63
	v_add_f16_e32 v63, v64, v67
	v_fma_f16 v64, v21, 0x3b76, -v81
	v_add_f16_e32 v16, v16, v42
	v_add_f16_e32 v20, v20, v13
	s_wait_dscnt 0x0
	v_lshrrev_b32_e32 v13, 16, v14
	v_add_f16_e32 v10, v10, v25
	v_lshrrev_b32_e32 v21, 16, v17
	v_fmac_f16_e32 v87, v101, v106
	v_add_f16_e32 v66, v80, v82
	v_fmac_f16_e32 v79, 0x3b29, v68
	v_mul_f16_e32 v75, v94, v89
	v_add_f16_e32 v16, v16, v44
	v_mul_f16_e32 v23, v17, v13
	v_add_f16_e32 v10, v10, v12
	v_mul_f16_e32 v12, v21, v13
	v_mul_f16_e32 v88, v87, v89
	v_add_f16_e32 v66, v79, v66
	v_fmac_f16_e32 v78, 0x35c8, v69
	v_fmac_f16_e32 v72, 0xba62, v61
	v_add_f16_e32 v61, v74, v62
	v_fmac_f16_e32 v75, v125, v87
	v_add_f16_e32 v62, v64, v63
	v_add_f16_e32 v16, v16, v45
	v_lshrrev_b32_e32 v13, 16, v18
	v_fmac_f16_e32 v23, v21, v14
	v_add_f16_e32 v10, v10, v11
	v_fma_f16 v12, v17, v14, -v12
	v_add_f16_e32 v63, v78, v66
	v_fmac_f16_e32 v71, 0xb836, v68
	v_fma_f16 v64, v125, v94, -v88
	v_mul_f16_e32 v66, v62, v75
	v_fmac_f16_e32 v70, 0xb1e1, v69
	v_lshrrev_b32_e32 v68, 16, v37
	v_lshrrev_b32_e32 v69, 16, v108
	v_add_f16_e32 v14, v16, v39
	v_mul_f16_e32 v16, v23, v13
	v_add_f16_e32 v7, v10, v7
	v_mul_f16_e32 v13, v12, v13
	v_mad_co_u64_u32 v[10:11], null, s2, v34, 0
	v_mul_f16_e32 v67, v63, v75
	v_fmac_f16_e32 v66, v63, v64
	v_mul_f16_e32 v63, v68, v69
	v_mad_u32_u24 v25, 0x121, v0, v35
	v_add_f16_e32 v17, v7, v8
	v_fmac_f16_e32 v13, v18, v23
	v_add_f16_e32 v61, v72, v61
	v_lshrrev_b32_e32 v55, 16, v107
	v_fma_f16 v63, v37, v108, -v63
	v_mul_f16_e32 v37, v37, v69
	v_mad_co_u64_u32 v[7:8], null, s0, v25, 0
	v_mov_b32_e32 v0, v11
	v_add_f16_e32 v14, v14, v38
	v_fma_f16 v16, v18, v12, -v16
	v_mul_f16_e32 v21, v17, v13
	v_add_nc_u32_e32 v23, 17, v25
	v_add_f16_e32 v61, v71, v61
	v_fmac_f16_e32 v37, v68, v108
	v_mul_f16_e32 v15, v63, v55
	v_mad_co_u64_u32 v[11:12], null, s3, v34, v[0:1]
	v_mul_f16_e32 v18, v14, v13
	v_mad_co_u64_u32 v[12:13], null, s1, v25, v[8:9]
	v_fmac_f16_e32 v21, v14, v16
	v_mad_co_u64_u32 v[13:14], null, s0, v23, 0
	v_add_f16_e32 v61, v70, v61
	v_mul_f16_e32 v19, v37, v55
	v_fmac_f16_e32 v15, v107, v37
	v_add_nc_u32_e32 v24, 34, v25
	s_lshl_b64 s[2:3], s[6:7], 2
	v_lshlrev_b64_e32 v[10:11], 2, v[10:11]
	v_fma_f16 v19, v107, v63, -v19
	v_mul_f16_e32 v22, v20, v15
	v_mul_f16_e32 v15, v61, v15
	v_mov_b32_e32 v0, v14
	v_mov_b32_e32 v8, v12
	s_wait_alu 0xfffe
	s_add_nc_u64 s[2:3], s[4:5], s[2:3]
	v_fmac_f16_e32 v22, v61, v19
	v_fma_f16 v19, v20, v19, -v15
	v_fma_f16 v20, v17, v16, -v18
	v_mad_co_u64_u32 v[15:16], null, s0, v24, 0
	v_mad_co_u64_u32 v[17:18], null, s1, v23, v[0:1]
	s_lshl_b64 s[4:5], s[16:17], 2
	v_lshlrev_b64_e32 v[7:8], 2, v[7:8]
	s_wait_alu 0xfffe
	s_add_nc_u64 s[2:3], s[2:3], s[4:5]
	v_add_nc_u32_e32 v18, 51, v25
	s_delay_alu instid0(VALU_DEP_4)
	v_mov_b32_e32 v0, v16
	s_wait_alu 0xfffe
	v_add_co_u32 v26, vcc_lo, s2, v10
	v_mov_b32_e32 v14, v17
	s_wait_alu 0xfffd
	v_add_co_ci_u32_e32 v27, vcc_lo, s3, v11, vcc_lo
	v_mad_co_u64_u32 v[10:11], null, s1, v24, v[0:1]
	s_delay_alu instid0(VALU_DEP_3)
	v_lshlrev_b64_e32 v[11:12], 2, v[13:14]
	v_add_co_u32 v7, vcc_lo, v26, v7
	s_wait_alu 0xfffd
	v_add_co_ci_u32_e32 v8, vcc_lo, v27, v8, vcc_lo
	v_mad_co_u64_u32 v[13:14], null, s0, v18, 0
	v_mov_b32_e32 v16, v10
	v_add_co_u32 v10, vcc_lo, v26, v11
	s_wait_alu 0xfffd
	v_add_co_ci_u32_e32 v11, vcc_lo, v27, v12, vcc_lo
	v_add_nc_u32_e32 v12, 0x44, v25
	v_mov_b32_e32 v0, v14
	v_lshlrev_b64_e32 v[14:15], 2, v[15:16]
	v_add_nc_u32_e32 v30, 0x55, v25
	v_pack_b32_f16 v28, v20, v21
	v_mad_co_u64_u32 v[16:17], null, s0, v12, 0
	v_pack_b32_f16 v29, v19, v22
	s_delay_alu instid0(VALU_DEP_4)
	v_mad_co_u64_u32 v[21:22], null, s0, v30, 0
	v_fma_f16 v62, v62, v64, -v67
	v_mad_co_u64_u32 v[18:19], null, s1, v18, v[0:1]
	v_mov_b32_e32 v0, v17
	v_add_co_u32 v19, vcc_lo, v26, v14
	s_wait_alu 0xfffd
	v_add_co_ci_u32_e32 v20, vcc_lo, v27, v15, vcc_lo
	v_pack_b32_f16 v15, v62, v66
	v_mad_co_u64_u32 v[23:24], null, s1, v12, v[0:1]
	v_mov_b32_e32 v0, v22
	s_clause 0x2
	global_store_b32 v[7:8], v28, off
	global_store_b32 v[10:11], v29, off
	;; [unrolled: 1-line block ×3, first 2 shown]
	v_dual_mov_b32 v14, v18 :: v_dual_add_nc_u32 v19, 0x66, v25
	v_add_nc_u32_e32 v24, 0x77, v25
	v_mad_co_u64_u32 v[10:11], null, s1, v30, v[0:1]
	s_delay_alu instid0(VALU_DEP_3)
	v_mad_co_u64_u32 v[11:12], null, s0, v19, 0
	v_mov_b32_e32 v17, v23
	v_lshlrev_b64_e32 v[7:8], 2, v[13:14]
	v_mul_f16_e32 v100, v122, v124
	v_fma_f16 v71, v96, v97, -v99
	v_mov_b32_e32 v22, v10
	v_lshlrev_b64_e32 v[13:14], 2, v[16:17]
	v_mov_b32_e32 v0, v12
	v_mad_co_u64_u32 v[15:16], null, s0, v24, 0
	v_add_co_u32 v7, vcc_lo, v26, v7
	v_lshlrev_b64_e32 v[17:18], 2, v[21:22]
	v_fmac_f16_e32 v100, v118, v123
	s_wait_alu 0xfffd
	v_add_co_ci_u32_e32 v8, vcc_lo, v27, v8, vcc_lo
	v_add_co_u32 v13, vcc_lo, v26, v13
	v_mad_co_u64_u32 v[19:20], null, s1, v19, v[0:1]
	s_wait_alu 0xfffd
	v_add_co_ci_u32_e32 v14, vcc_lo, v27, v14, vcc_lo
	v_pack_b32_f16 v23, v71, v98
	v_mov_b32_e32 v0, v16
	v_add_co_u32 v16, vcc_lo, v26, v17
	v_pack_b32_f16 v10, v95, v100
	s_wait_alu 0xfffd
	v_add_co_ci_u32_e32 v17, vcc_lo, v27, v18, vcc_lo
	v_pack_b32_f16 v18, v117, v116
	v_mad_co_u64_u32 v[20:21], null, s1, v24, v[0:1]
	v_mov_b32_e32 v12, v19
	s_clause 0x2
	global_store_b32 v[7:8], v23, off
	global_store_b32 v[13:14], v10, off
	;; [unrolled: 1-line block ×3, first 2 shown]
	v_add_nc_u32_e32 v18, 0x88, v25
	v_add_nc_u32_e32 v21, 0x99, v25
	;; [unrolled: 1-line block ×3, first 2 shown]
	v_lshlrev_b64_e32 v[7:8], 2, v[11:12]
	v_mov_b32_e32 v16, v20
	v_mad_co_u64_u32 v[10:11], null, s0, v18, 0
	v_mad_co_u64_u32 v[12:13], null, s0, v21, 0
	s_delay_alu instid0(VALU_DEP_3)
	v_lshlrev_b64_e32 v[14:15], 2, v[15:16]
	v_mad_co_u64_u32 v[16:17], null, s0, v23, 0
	v_fma_f16 v134, v162, v164, -v156
	v_mov_b32_e32 v0, v11
	v_add_co_u32 v7, vcc_lo, v26, v7
	v_mov_b32_e32 v11, v13
	s_wait_alu 0xfffd
	v_add_co_ci_u32_e32 v8, vcc_lo, v27, v8, vcc_lo
	v_mad_co_u64_u32 v[18:19], null, s1, v18, v[0:1]
	s_delay_alu instid0(VALU_DEP_3) | instskip(SKIP_4) | instid1(VALU_DEP_4)
	v_mad_co_u64_u32 v[19:20], null, s1, v21, v[11:12]
	v_mov_b32_e32 v0, v17
	v_pack_b32_f16 v22, v134, v155
	v_add_co_u32 v14, vcc_lo, v26, v14
	v_mov_b32_e32 v11, v18
	v_mad_co_u64_u32 v[17:18], null, s1, v23, v[0:1]
	v_dual_mov_b32 v13, v19 :: v_dual_add_nc_u32 v18, 0xbb, v25
	global_store_b32 v[7:8], v22, off
	v_lshlrev_b64_e32 v[7:8], 2, v[10:11]
	s_wait_alu 0xfffd
	v_add_co_ci_u32_e32 v15, vcc_lo, v27, v15, vcc_lo
	v_lshlrev_b64_e32 v[10:11], 2, v[12:13]
	v_mad_co_u64_u32 v[12:13], null, s0, v18, 0
	v_pack_b32_f16 v20, v154, v153
	v_fma_f16 v148, v204, v197, -v199
	v_add_co_u32 v7, vcc_lo, v26, v7
	s_wait_alu 0xfffd
	v_add_co_ci_u32_e32 v8, vcc_lo, v27, v8, vcc_lo
	v_mov_b32_e32 v0, v13
	global_store_b32 v[14:15], v20, off
	v_lshlrev_b64_e32 v[14:15], 2, v[16:17]
	v_add_co_u32 v10, vcc_lo, v26, v10
	v_mad_co_u64_u32 v[16:17], null, s1, v18, v[0:1]
	v_pack_b32_f16 v19, v150, v149
	s_wait_alu 0xfffd
	v_add_co_ci_u32_e32 v11, vcc_lo, v27, v11, vcc_lo
	v_pack_b32_f16 v0, v148, v120
	v_add_co_u32 v14, vcc_lo, v26, v14
	v_dual_mov_b32 v13, v16 :: v_dual_add_nc_u32 v16, 0xcc, v25
	s_clause 0x1
	global_store_b32 v[7:8], v19, off
	global_store_b32 v[10:11], v0, off
	v_add_nc_u32_e32 v18, 0xdd, v25
	s_wait_alu 0xfffd
	v_add_co_ci_u32_e32 v15, vcc_lo, v27, v15, vcc_lo
	v_mad_co_u64_u32 v[10:11], null, s0, v16, 0
	v_pack_b32_f16 v17, v119, v115
	v_add_nc_u32_e32 v20, 0xee, v25
	v_lshlrev_b64_e32 v[7:8], 2, v[12:13]
	v_mad_co_u64_u32 v[12:13], null, s0, v18, 0
	global_store_b32 v[14:15], v17, off
	v_mov_b32_e32 v0, v11
	v_mad_co_u64_u32 v[14:15], null, s0, v20, 0
	v_add_nc_u32_e32 v21, 0xff, v25
	v_add_co_u32 v7, vcc_lo, v26, v7
	s_delay_alu instid0(VALU_DEP_4) | instskip(NEXT) | instid1(VALU_DEP_4)
	v_mad_co_u64_u32 v[16:17], null, s1, v16, v[0:1]
	v_dual_mov_b32 v11, v13 :: v_dual_mov_b32 v0, v15
	s_wait_alu 0xfffd
	v_add_co_ci_u32_e32 v8, vcc_lo, v27, v8, vcc_lo
	v_pack_b32_f16 v13, v114, v113
	s_delay_alu instid0(VALU_DEP_3)
	v_mad_co_u64_u32 v[17:18], null, s1, v18, v[11:12]
	v_mad_co_u64_u32 v[18:19], null, s0, v21, 0
	v_mov_b32_e32 v11, v16
	v_mad_co_u64_u32 v[15:16], null, s1, v20, v[0:1]
	v_add_nc_u32_e32 v20, 0x110, v25
	global_store_b32 v[7:8], v13, off
	v_lshlrev_b64_e32 v[7:8], 2, v[10:11]
	v_dual_mov_b32 v0, v19 :: v_dual_mov_b32 v13, v17
	v_mad_co_u64_u32 v[10:11], null, s0, v20, 0
	v_pack_b32_f16 v22, v112, v111
	s_delay_alu instid0(VALU_DEP_3)
	v_mad_co_u64_u32 v[16:17], null, s1, v21, v[0:1]
	v_add_co_u32 v7, vcc_lo, v26, v7
	s_wait_alu 0xfffd
	v_add_co_ci_u32_e32 v8, vcc_lo, v27, v8, vcc_lo
	v_mov_b32_e32 v0, v11
	v_lshlrev_b64_e32 v[11:12], 2, v[12:13]
	v_mov_b32_e32 v19, v16
	v_lshlrev_b64_e32 v[13:14], 2, v[14:15]
	v_pack_b32_f16 v6, v6, v4
	v_mad_co_u64_u32 v[20:21], null, s1, v20, v[0:1]
	v_add_co_u32 v15, vcc_lo, v26, v11
	v_lshlrev_b64_e32 v[17:18], 2, v[18:19]
	s_wait_alu 0xfffd
	v_add_co_ci_u32_e32 v16, vcc_lo, v27, v12, vcc_lo
	v_pack_b32_f16 v0, v110, v9
	v_mov_b32_e32 v11, v20
	v_add_co_u32 v12, vcc_lo, v26, v13
	s_wait_alu 0xfffd
	v_add_co_ci_u32_e32 v13, vcc_lo, v27, v14, vcc_lo
	s_delay_alu instid0(VALU_DEP_3) | instskip(SKIP_4) | instid1(VALU_DEP_4)
	v_lshlrev_b64_e32 v[9:10], 2, v[10:11]
	v_add_co_u32 v17, vcc_lo, v26, v17
	s_wait_alu 0xfffd
	v_add_co_ci_u32_e32 v18, vcc_lo, v27, v18, vcc_lo
	v_pack_b32_f16 v5, v5, v3
	v_add_co_u32 v3, vcc_lo, v26, v9
	s_wait_alu 0xfffd
	v_add_co_ci_u32_e32 v4, vcc_lo, v27, v10, vcc_lo
	v_pack_b32_f16 v1, v2, v1
	s_clause 0x4
	global_store_b32 v[7:8], v22, off
	global_store_b32 v[15:16], v0, off
	;; [unrolled: 1-line block ×5, first 2 shown]
.LBB0_51:
	s_nop 0
	s_sendmsg sendmsg(MSG_DEALLOC_VGPRS)
	s_endpgm
	.section	.rodata,"a",@progbits
	.p2align	6, 0x0
	.amdhsa_kernel fft_rtc_fwd_len289_factors_17_17_wgs_119_tpt_17_half_op_CI_CI_sbcc_twdbase6_3step_dirReg_intrinsicRead
		.amdhsa_group_segment_fixed_size 0
		.amdhsa_private_segment_fixed_size 0
		.amdhsa_kernarg_size 112
		.amdhsa_user_sgpr_count 2
		.amdhsa_user_sgpr_dispatch_ptr 0
		.amdhsa_user_sgpr_queue_ptr 0
		.amdhsa_user_sgpr_kernarg_segment_ptr 1
		.amdhsa_user_sgpr_dispatch_id 0
		.amdhsa_user_sgpr_private_segment_size 0
		.amdhsa_wavefront_size32 1
		.amdhsa_uses_dynamic_stack 0
		.amdhsa_enable_private_segment 0
		.amdhsa_system_sgpr_workgroup_id_x 1
		.amdhsa_system_sgpr_workgroup_id_y 0
		.amdhsa_system_sgpr_workgroup_id_z 0
		.amdhsa_system_sgpr_workgroup_info 0
		.amdhsa_system_vgpr_workitem_id 0
		.amdhsa_next_free_vgpr 211
		.amdhsa_next_free_sgpr 60
		.amdhsa_reserve_vcc 1
		.amdhsa_float_round_mode_32 0
		.amdhsa_float_round_mode_16_64 0
		.amdhsa_float_denorm_mode_32 3
		.amdhsa_float_denorm_mode_16_64 3
		.amdhsa_fp16_overflow 0
		.amdhsa_workgroup_processor_mode 1
		.amdhsa_memory_ordered 1
		.amdhsa_forward_progress 0
		.amdhsa_round_robin_scheduling 0
		.amdhsa_exception_fp_ieee_invalid_op 0
		.amdhsa_exception_fp_denorm_src 0
		.amdhsa_exception_fp_ieee_div_zero 0
		.amdhsa_exception_fp_ieee_overflow 0
		.amdhsa_exception_fp_ieee_underflow 0
		.amdhsa_exception_fp_ieee_inexact 0
		.amdhsa_exception_int_div_zero 0
	.end_amdhsa_kernel
	.text
.Lfunc_end0:
	.size	fft_rtc_fwd_len289_factors_17_17_wgs_119_tpt_17_half_op_CI_CI_sbcc_twdbase6_3step_dirReg_intrinsicRead, .Lfunc_end0-fft_rtc_fwd_len289_factors_17_17_wgs_119_tpt_17_half_op_CI_CI_sbcc_twdbase6_3step_dirReg_intrinsicRead
                                        ; -- End function
	.section	.AMDGPU.csdata,"",@progbits
; Kernel info:
; codeLenInByte = 20168
; NumSgprs: 62
; NumVgprs: 211
; ScratchSize: 0
; MemoryBound: 0
; FloatMode: 240
; IeeeMode: 1
; LDSByteSize: 0 bytes/workgroup (compile time only)
; SGPRBlocks: 7
; VGPRBlocks: 26
; NumSGPRsForWavesPerEU: 62
; NumVGPRsForWavesPerEU: 211
; Occupancy: 7
; WaveLimiterHint : 1
; COMPUTE_PGM_RSRC2:SCRATCH_EN: 0
; COMPUTE_PGM_RSRC2:USER_SGPR: 2
; COMPUTE_PGM_RSRC2:TRAP_HANDLER: 0
; COMPUTE_PGM_RSRC2:TGID_X_EN: 1
; COMPUTE_PGM_RSRC2:TGID_Y_EN: 0
; COMPUTE_PGM_RSRC2:TGID_Z_EN: 0
; COMPUTE_PGM_RSRC2:TIDIG_COMP_CNT: 0
	.text
	.p2alignl 7, 3214868480
	.fill 96, 4, 3214868480
	.type	__hip_cuid_802e240b14bac855,@object ; @__hip_cuid_802e240b14bac855
	.section	.bss,"aw",@nobits
	.globl	__hip_cuid_802e240b14bac855
__hip_cuid_802e240b14bac855:
	.byte	0                               ; 0x0
	.size	__hip_cuid_802e240b14bac855, 1

	.ident	"AMD clang version 19.0.0git (https://github.com/RadeonOpenCompute/llvm-project roc-6.4.0 25133 c7fe45cf4b819c5991fe208aaa96edf142730f1d)"
	.section	".note.GNU-stack","",@progbits
	.addrsig
	.addrsig_sym __hip_cuid_802e240b14bac855
	.amdgpu_metadata
---
amdhsa.kernels:
  - .args:
      - .actual_access:  read_only
        .address_space:  global
        .offset:         0
        .size:           8
        .value_kind:     global_buffer
      - .address_space:  global
        .offset:         8
        .size:           8
        .value_kind:     global_buffer
      - .offset:         16
        .size:           8
        .value_kind:     by_value
      - .actual_access:  read_only
        .address_space:  global
        .offset:         24
        .size:           8
        .value_kind:     global_buffer
      - .actual_access:  read_only
        .address_space:  global
        .offset:         32
        .size:           8
        .value_kind:     global_buffer
      - .actual_access:  read_only
        .address_space:  global
        .offset:         40
        .size:           8
        .value_kind:     global_buffer
      - .offset:         48
        .size:           8
        .value_kind:     by_value
      - .actual_access:  read_only
        .address_space:  global
        .offset:         56
        .size:           8
        .value_kind:     global_buffer
      - .actual_access:  read_only
        .address_space:  global
        .offset:         64
        .size:           8
        .value_kind:     global_buffer
      - .offset:         72
        .size:           4
        .value_kind:     by_value
      - .actual_access:  read_only
        .address_space:  global
        .offset:         80
        .size:           8
        .value_kind:     global_buffer
      - .actual_access:  read_only
        .address_space:  global
        .offset:         88
        .size:           8
        .value_kind:     global_buffer
      - .actual_access:  read_only
        .address_space:  global
        .offset:         96
        .size:           8
        .value_kind:     global_buffer
      - .actual_access:  write_only
        .address_space:  global
        .offset:         104
        .size:           8
        .value_kind:     global_buffer
    .group_segment_fixed_size: 0
    .kernarg_segment_align: 8
    .kernarg_segment_size: 112
    .language:       OpenCL C
    .language_version:
      - 2
      - 0
    .max_flat_workgroup_size: 119
    .name:           fft_rtc_fwd_len289_factors_17_17_wgs_119_tpt_17_half_op_CI_CI_sbcc_twdbase6_3step_dirReg_intrinsicRead
    .private_segment_fixed_size: 0
    .sgpr_count:     62
    .sgpr_spill_count: 0
    .symbol:         fft_rtc_fwd_len289_factors_17_17_wgs_119_tpt_17_half_op_CI_CI_sbcc_twdbase6_3step_dirReg_intrinsicRead.kd
    .uniform_work_group_size: 1
    .uses_dynamic_stack: false
    .vgpr_count:     211
    .vgpr_spill_count: 0
    .wavefront_size: 32
    .workgroup_processor_mode: 1
amdhsa.target:   amdgcn-amd-amdhsa--gfx1201
amdhsa.version:
  - 1
  - 2
...

	.end_amdgpu_metadata
